;; amdgpu-corpus repo=ROCm/rocFFT kind=compiled arch=gfx950 opt=O3
	.text
	.amdgcn_target "amdgcn-amd-amdhsa--gfx950"
	.amdhsa_code_object_version 6
	.protected	fft_rtc_fwd_len924_factors_2_2_3_7_11_wgs_44_tpt_44_halfLds_sp_ip_CI_sbrr_dirReg ; -- Begin function fft_rtc_fwd_len924_factors_2_2_3_7_11_wgs_44_tpt_44_halfLds_sp_ip_CI_sbrr_dirReg
	.globl	fft_rtc_fwd_len924_factors_2_2_3_7_11_wgs_44_tpt_44_halfLds_sp_ip_CI_sbrr_dirReg
	.p2align	8
	.type	fft_rtc_fwd_len924_factors_2_2_3_7_11_wgs_44_tpt_44_halfLds_sp_ip_CI_sbrr_dirReg,@function
fft_rtc_fwd_len924_factors_2_2_3_7_11_wgs_44_tpt_44_halfLds_sp_ip_CI_sbrr_dirReg: ; @fft_rtc_fwd_len924_factors_2_2_3_7_11_wgs_44_tpt_44_halfLds_sp_ip_CI_sbrr_dirReg
; %bb.0:
	s_load_dwordx2 s[12:13], s[0:1], 0x18
	s_load_dwordx4 s[4:7], s[0:1], 0x0
	s_load_dwordx2 s[10:11], s[0:1], 0x50
	v_mul_u32_u24_e32 v1, 0x5d2, v0
	v_add_u32_sdwa v6, s2, v1 dst_sel:DWORD dst_unused:UNUSED_PAD src0_sel:DWORD src1_sel:WORD_1
	s_waitcnt lgkmcnt(0)
	s_load_dwordx2 s[8:9], s[12:13], 0x0
	v_mov_b32_e32 v4, 0
	v_cmp_lt_u64_e64 s[2:3], s[6:7], 2
	v_mov_b32_e32 v7, v4
	s_and_b64 vcc, exec, s[2:3]
	v_mov_b64_e32 v[2:3], 0
	s_cbranch_vccnz .LBB0_8
; %bb.1:
	s_load_dwordx2 s[2:3], s[0:1], 0x10
	s_add_u32 s14, s12, 8
	s_addc_u32 s15, s13, 0
	s_mov_b64 s[16:17], 1
	v_mov_b64_e32 v[2:3], 0
	s_waitcnt lgkmcnt(0)
	s_add_u32 s18, s2, 8
	s_addc_u32 s19, s3, 0
.LBB0_2:                                ; =>This Inner Loop Header: Depth=1
	s_load_dwordx2 s[20:21], s[18:19], 0x0
                                        ; implicit-def: $vgpr8_vgpr9
	s_waitcnt lgkmcnt(0)
	v_or_b32_e32 v5, s21, v7
	v_cmp_ne_u64_e32 vcc, 0, v[4:5]
	s_and_saveexec_b64 s[2:3], vcc
	s_xor_b64 s[22:23], exec, s[2:3]
	s_cbranch_execz .LBB0_4
; %bb.3:                                ;   in Loop: Header=BB0_2 Depth=1
	v_cvt_f32_u32_e32 v1, s20
	v_cvt_f32_u32_e32 v5, s21
	s_sub_u32 s2, 0, s20
	s_subb_u32 s3, 0, s21
	v_fmac_f32_e32 v1, 0x4f800000, v5
	v_rcp_f32_e32 v1, v1
	s_nop 0
	v_mul_f32_e32 v1, 0x5f7ffffc, v1
	v_mul_f32_e32 v5, 0x2f800000, v1
	v_trunc_f32_e32 v5, v5
	v_fmac_f32_e32 v1, 0xcf800000, v5
	v_cvt_u32_f32_e32 v5, v5
	v_cvt_u32_f32_e32 v1, v1
	v_mul_lo_u32 v8, s2, v5
	v_mul_hi_u32 v10, s2, v1
	v_mul_lo_u32 v9, s3, v1
	v_add_u32_e32 v10, v10, v8
	v_mul_lo_u32 v12, s2, v1
	v_add_u32_e32 v13, v10, v9
	v_mul_hi_u32 v8, v1, v12
	v_mul_hi_u32 v11, v1, v13
	v_mul_lo_u32 v10, v1, v13
	v_mov_b32_e32 v9, v4
	v_lshl_add_u64 v[8:9], v[8:9], 0, v[10:11]
	v_mul_hi_u32 v11, v5, v12
	v_mul_lo_u32 v12, v5, v12
	v_add_co_u32_e32 v8, vcc, v8, v12
	v_mul_hi_u32 v10, v5, v13
	s_nop 0
	v_addc_co_u32_e32 v8, vcc, v9, v11, vcc
	v_mov_b32_e32 v9, v4
	s_nop 0
	v_addc_co_u32_e32 v11, vcc, 0, v10, vcc
	v_mul_lo_u32 v10, v5, v13
	v_lshl_add_u64 v[8:9], v[8:9], 0, v[10:11]
	v_add_co_u32_e32 v1, vcc, v1, v8
	v_mul_lo_u32 v10, s2, v1
	s_nop 0
	v_addc_co_u32_e32 v5, vcc, v5, v9, vcc
	v_mul_lo_u32 v8, s2, v5
	v_mul_hi_u32 v9, s2, v1
	v_add_u32_e32 v8, v9, v8
	v_mul_lo_u32 v9, s3, v1
	v_add_u32_e32 v12, v8, v9
	v_mul_hi_u32 v14, v5, v10
	v_mul_lo_u32 v15, v5, v10
	v_mul_hi_u32 v9, v1, v12
	v_mul_lo_u32 v8, v1, v12
	v_mul_hi_u32 v10, v1, v10
	v_mov_b32_e32 v11, v4
	v_lshl_add_u64 v[8:9], v[10:11], 0, v[8:9]
	v_add_co_u32_e32 v8, vcc, v8, v15
	v_mul_hi_u32 v13, v5, v12
	s_nop 0
	v_addc_co_u32_e32 v8, vcc, v9, v14, vcc
	v_mul_lo_u32 v10, v5, v12
	s_nop 0
	v_addc_co_u32_e32 v11, vcc, 0, v13, vcc
	v_mov_b32_e32 v9, v4
	v_lshl_add_u64 v[8:9], v[8:9], 0, v[10:11]
	v_add_co_u32_e32 v1, vcc, v1, v8
	v_mul_hi_u32 v10, v6, v1
	s_nop 0
	v_addc_co_u32_e32 v5, vcc, v5, v9, vcc
	v_mad_u64_u32 v[8:9], s[2:3], v6, v5, 0
	v_mov_b32_e32 v11, v4
	v_lshl_add_u64 v[8:9], v[10:11], 0, v[8:9]
	v_mad_u64_u32 v[12:13], s[2:3], v7, v1, 0
	v_add_co_u32_e32 v1, vcc, v8, v12
	v_mad_u64_u32 v[10:11], s[2:3], v7, v5, 0
	s_nop 0
	v_addc_co_u32_e32 v8, vcc, v9, v13, vcc
	v_mov_b32_e32 v9, v4
	s_nop 0
	v_addc_co_u32_e32 v11, vcc, 0, v11, vcc
	v_lshl_add_u64 v[8:9], v[8:9], 0, v[10:11]
	v_mul_lo_u32 v1, s21, v8
	v_mul_lo_u32 v5, s20, v9
	v_mad_u64_u32 v[10:11], s[2:3], s20, v8, 0
	v_add3_u32 v1, v11, v5, v1
	v_sub_u32_e32 v5, v7, v1
	v_mov_b32_e32 v11, s21
	v_sub_co_u32_e32 v14, vcc, v6, v10
	v_lshl_add_u64 v[12:13], v[8:9], 0, 1
	s_nop 0
	v_subb_co_u32_e64 v5, s[2:3], v5, v11, vcc
	v_subrev_co_u32_e64 v10, s[2:3], s20, v14
	v_subb_co_u32_e32 v1, vcc, v7, v1, vcc
	s_nop 0
	v_subbrev_co_u32_e64 v5, s[2:3], 0, v5, s[2:3]
	v_cmp_le_u32_e64 s[2:3], s21, v5
	v_cmp_le_u32_e32 vcc, s21, v1
	s_nop 0
	v_cndmask_b32_e64 v11, 0, -1, s[2:3]
	v_cmp_le_u32_e64 s[2:3], s20, v10
	s_nop 1
	v_cndmask_b32_e64 v10, 0, -1, s[2:3]
	v_cmp_eq_u32_e64 s[2:3], s21, v5
	s_nop 1
	v_cndmask_b32_e64 v5, v11, v10, s[2:3]
	v_lshl_add_u64 v[10:11], v[8:9], 0, 2
	v_cmp_ne_u32_e64 s[2:3], 0, v5
	s_nop 1
	v_cndmask_b32_e64 v5, v13, v11, s[2:3]
	v_cndmask_b32_e64 v11, 0, -1, vcc
	v_cmp_le_u32_e32 vcc, s20, v14
	s_nop 1
	v_cndmask_b32_e64 v13, 0, -1, vcc
	v_cmp_eq_u32_e32 vcc, s21, v1
	s_nop 1
	v_cndmask_b32_e32 v1, v11, v13, vcc
	v_cmp_ne_u32_e32 vcc, 0, v1
	v_cndmask_b32_e64 v1, v12, v10, s[2:3]
	s_nop 0
	v_cndmask_b32_e32 v9, v9, v5, vcc
	v_cndmask_b32_e32 v8, v8, v1, vcc
.LBB0_4:                                ;   in Loop: Header=BB0_2 Depth=1
	s_andn2_saveexec_b64 s[2:3], s[22:23]
	s_cbranch_execz .LBB0_6
; %bb.5:                                ;   in Loop: Header=BB0_2 Depth=1
	v_cvt_f32_u32_e32 v1, s20
	s_sub_i32 s22, 0, s20
	v_rcp_iflag_f32_e32 v1, v1
	s_nop 0
	v_mul_f32_e32 v1, 0x4f7ffffe, v1
	v_cvt_u32_f32_e32 v1, v1
	v_mul_lo_u32 v5, s22, v1
	v_mul_hi_u32 v5, v1, v5
	v_add_u32_e32 v1, v1, v5
	v_mul_hi_u32 v1, v6, v1
	v_mul_lo_u32 v5, v1, s20
	v_sub_u32_e32 v5, v6, v5
	v_add_u32_e32 v8, 1, v1
	v_subrev_u32_e32 v9, s20, v5
	v_cmp_le_u32_e32 vcc, s20, v5
	s_nop 1
	v_cndmask_b32_e32 v5, v5, v9, vcc
	v_cndmask_b32_e32 v1, v1, v8, vcc
	v_add_u32_e32 v8, 1, v1
	v_cmp_le_u32_e32 vcc, s20, v5
	v_mov_b32_e32 v9, v4
	s_nop 0
	v_cndmask_b32_e32 v8, v1, v8, vcc
.LBB0_6:                                ;   in Loop: Header=BB0_2 Depth=1
	s_or_b64 exec, exec, s[2:3]
	v_mad_u64_u32 v[10:11], s[2:3], v8, s20, 0
	s_load_dwordx2 s[2:3], s[14:15], 0x0
	v_mul_lo_u32 v1, v9, s20
	v_mul_lo_u32 v5, v8, s21
	v_add3_u32 v1, v11, v5, v1
	v_sub_co_u32_e32 v5, vcc, v6, v10
	s_add_u32 s16, s16, 1
	s_nop 0
	v_subb_co_u32_e32 v1, vcc, v7, v1, vcc
	s_addc_u32 s17, s17, 0
	s_waitcnt lgkmcnt(0)
	v_mul_lo_u32 v1, s2, v1
	v_mul_lo_u32 v6, s3, v5
	v_mad_u64_u32 v[2:3], s[2:3], s2, v5, v[2:3]
	s_add_u32 s14, s14, 8
	v_add3_u32 v3, v6, v3, v1
	s_addc_u32 s15, s15, 0
	v_mov_b64_e32 v[6:7], s[6:7]
	s_add_u32 s18, s18, 8
	v_cmp_ge_u64_e32 vcc, s[16:17], v[6:7]
	s_addc_u32 s19, s19, 0
	s_cbranch_vccnz .LBB0_9
; %bb.7:                                ;   in Loop: Header=BB0_2 Depth=1
	v_mov_b64_e32 v[6:7], v[8:9]
	s_branch .LBB0_2
.LBB0_8:
	v_mov_b64_e32 v[8:9], v[6:7]
.LBB0_9:
	s_lshl_b64 s[2:3], s[6:7], 3
	s_add_u32 s2, s12, s2
	s_addc_u32 s3, s13, s3
	s_load_dwordx2 s[6:7], s[2:3], 0x0
	s_load_dwordx2 s[12:13], s[0:1], 0x20
	s_mov_b32 s2, 0x5d1745e
                                        ; implicit-def: $vgpr71
                                        ; implicit-def: $vgpr58
                                        ; implicit-def: $vgpr59
                                        ; implicit-def: $vgpr60
                                        ; implicit-def: $vgpr61
                                        ; implicit-def: $vgpr62
                                        ; implicit-def: $vgpr66
                                        ; implicit-def: $vgpr67
                                        ; implicit-def: $vgpr68
	s_waitcnt lgkmcnt(0)
	v_mul_lo_u32 v1, s6, v9
	v_mul_lo_u32 v4, s7, v8
	v_mad_u64_u32 v[2:3], s[0:1], s6, v8, v[2:3]
	v_add3_u32 v3, v4, v3, v1
	v_mul_hi_u32 v1, v0, s2
	v_mul_u32_u24_e32 v1, 44, v1
	v_cmp_gt_u64_e32 vcc, s[12:13], v[8:9]
	v_cmp_le_u64_e64 s[0:1], s[12:13], v[8:9]
	v_sub_u32_e32 v70, v0, v1
                                        ; implicit-def: $sgpr6
	s_and_saveexec_b64 s[2:3], s[0:1]
	s_xor_b64 s[0:1], exec, s[2:3]
; %bb.10:
	v_add_u32_e32 v71, 44, v70
	v_add_u32_e32 v58, 0x58, v70
	;; [unrolled: 1-line block ×9, first 2 shown]
	s_mov_b32 s6, 0
; %bb.11:
	s_or_saveexec_b64 s[2:3], s[0:1]
	v_mov_b32_e32 v24, s6
	v_lshl_add_u64 v[32:33], v[2:3], 3, s[10:11]
	v_mov_b32_e32 v25, s6
                                        ; implicit-def: $vgpr38
                                        ; implicit-def: $vgpr40
                                        ; implicit-def: $vgpr36
                                        ; implicit-def: $vgpr0
                                        ; implicit-def: $vgpr4
                                        ; implicit-def: $vgpr2
                                        ; implicit-def: $vgpr6
                                        ; implicit-def: $vgpr8
                                        ; implicit-def: $vgpr12
                                        ; implicit-def: $vgpr10
                                        ; implicit-def: $vgpr14
                                        ; implicit-def: $vgpr16
                                        ; implicit-def: $vgpr20
                                        ; implicit-def: $vgpr18
                                        ; implicit-def: $vgpr22
                                        ; implicit-def: $vgpr26
                                        ; implicit-def: $vgpr30
                                        ; implicit-def: $vgpr28
                                        ; implicit-def: $vgpr34
                                        ; implicit-def: $vgpr42
                                        ; implicit-def: $vgpr44
	s_xor_b64 exec, exec, s[2:3]
	s_cbranch_execz .LBB0_15
; %bb.12:
	v_mad_u64_u32 v[0:1], s[0:1], s8, v70, 0
	v_mov_b32_e32 v2, v1
	v_mad_u64_u32 v[2:3], s[0:1], s9, v70, v[2:3]
	v_mov_b32_e32 v1, v2
	v_add_u32_e32 v3, 0x1ce, v70
	v_lshl_add_u64 v[8:9], v[0:1], 3, v[32:33]
	v_mad_u64_u32 v[0:1], s[0:1], s8, v3, 0
	v_mov_b32_e32 v2, v1
	v_mad_u64_u32 v[2:3], s[0:1], s9, v3, v[2:3]
	v_mov_b32_e32 v1, v2
	v_add_u32_e32 v71, 44, v70
	v_lshl_add_u64 v[10:11], v[0:1], 3, v[32:33]
	v_mad_u64_u32 v[0:1], s[0:1], s8, v71, 0
	v_mov_b32_e32 v2, v1
	v_mad_u64_u32 v[2:3], s[0:1], s9, v71, v[2:3]
	v_mov_b32_e32 v1, v2
	v_add_u32_e32 v3, 0x1fa, v70
	v_lshl_add_u64 v[12:13], v[0:1], 3, v[32:33]
	v_mad_u64_u32 v[0:1], s[0:1], s8, v3, 0
	v_mov_b32_e32 v2, v1
	v_mad_u64_u32 v[2:3], s[0:1], s9, v3, v[2:3]
	v_mov_b32_e32 v1, v2
	v_add_u32_e32 v58, 0x58, v70
	v_lshl_add_u64 v[14:15], v[0:1], 3, v[32:33]
	global_load_dwordx2 v[0:1], v[8:9], off
	global_load_dwordx2 v[4:5], v[10:11], off
	global_load_dwordx2 v[2:3], v[12:13], off
	global_load_dwordx2 v[6:7], v[14:15], off
	v_mad_u64_u32 v[8:9], s[0:1], s8, v58, 0
	v_mov_b32_e32 v10, v9
	v_mad_u64_u32 v[10:11], s[0:1], s9, v58, v[10:11]
	v_mov_b32_e32 v9, v10
	v_add_u32_e32 v11, 0x226, v70
	v_lshl_add_u64 v[16:17], v[8:9], 3, v[32:33]
	v_mad_u64_u32 v[8:9], s[0:1], s8, v11, 0
	v_mov_b32_e32 v10, v9
	v_mad_u64_u32 v[10:11], s[0:1], s9, v11, v[10:11]
	v_mov_b32_e32 v9, v10
	v_add_u32_e32 v59, 0x84, v70
	v_lshl_add_u64 v[18:19], v[8:9], 3, v[32:33]
	v_mad_u64_u32 v[8:9], s[0:1], s8, v59, 0
	v_mov_b32_e32 v10, v9
	v_mad_u64_u32 v[10:11], s[0:1], s9, v59, v[10:11]
	v_mov_b32_e32 v9, v10
	v_add_u32_e32 v11, 0x252, v70
	v_lshl_add_u64 v[20:21], v[8:9], 3, v[32:33]
	v_mad_u64_u32 v[8:9], s[0:1], s8, v11, 0
	v_mov_b32_e32 v10, v9
	v_mad_u64_u32 v[10:11], s[0:1], s9, v11, v[10:11]
	v_mov_b32_e32 v9, v10
	v_add_u32_e32 v60, 0xb0, v70
	v_lshl_add_u64 v[22:23], v[8:9], 3, v[32:33]
	global_load_dwordx2 v[8:9], v[16:17], off
	global_load_dwordx2 v[12:13], v[18:19], off
	global_load_dwordx2 v[10:11], v[20:21], off
	global_load_dwordx2 v[14:15], v[22:23], off
	;; [unrolled: 28-line block ×3, first 2 shown]
	v_mad_u64_u32 v[24:25], s[0:1], s8, v62, 0
	v_mov_b32_e32 v26, v25
	v_mad_u64_u32 v[26:27], s[0:1], s9, v62, v[26:27]
	v_add_u32_e32 v29, 0x2d6, v70
	v_mov_b32_e32 v25, v26
	v_mad_u64_u32 v[26:27], s[0:1], s8, v29, 0
	v_mov_b32_e32 v28, v27
	v_mad_u64_u32 v[28:29], s[0:1], s9, v29, v[28:29]
	v_mov_b32_e32 v27, v28
	v_add_u32_e32 v66, 0x134, v70
	v_lshl_add_u64 v[36:37], v[26:27], 3, v[32:33]
	v_mad_u64_u32 v[26:27], s[0:1], s8, v66, 0
	v_mov_b32_e32 v28, v27
	v_mad_u64_u32 v[28:29], s[0:1], s9, v66, v[28:29]
	v_mov_b32_e32 v27, v28
	v_add_u32_e32 v29, 0x302, v70
	v_lshl_add_u64 v[38:39], v[26:27], 3, v[32:33]
	v_mad_u64_u32 v[26:27], s[0:1], s8, v29, 0
	v_mov_b32_e32 v28, v27
	v_mad_u64_u32 v[28:29], s[0:1], s9, v29, v[28:29]
	v_lshl_add_u64 v[24:25], v[24:25], 3, v[32:33]
	v_mov_b32_e32 v27, v28
	v_add_u32_e32 v67, 0x160, v70
	v_lshl_add_u64 v[40:41], v[26:27], 3, v[32:33]
	global_load_dwordx2 v[26:27], v[24:25], off
	global_load_dwordx2 v[30:31], v[36:37], off
	;; [unrolled: 1-line block ×4, first 2 shown]
	v_mad_u64_u32 v[24:25], s[0:1], s8, v67, 0
	v_mov_b32_e32 v36, v25
	v_mad_u64_u32 v[36:37], s[0:1], s9, v67, v[36:37]
	v_add_u32_e32 v39, 0x32e, v70
	v_mov_b32_e32 v25, v36
	v_mad_u64_u32 v[36:37], s[0:1], s8, v39, 0
	v_mov_b32_e32 v38, v37
	v_mad_u64_u32 v[38:39], s[0:1], s9, v39, v[38:39]
	v_add_u32_e32 v68, 0x18c, v70
	v_mov_b32_e32 v37, v38
	v_mad_u64_u32 v[38:39], s[0:1], s8, v68, 0
	v_mov_b32_e32 v40, v39
	v_mad_u64_u32 v[40:41], s[0:1], s9, v68, v[40:41]
	v_mov_b32_e32 v39, v40
	v_add_u32_e32 v41, 0x35a, v70
	v_lshl_add_u64 v[46:47], v[38:39], 3, v[32:33]
	v_mad_u64_u32 v[38:39], s[0:1], s8, v41, 0
	v_mov_b32_e32 v40, v39
	v_mad_u64_u32 v[40:41], s[0:1], s9, v41, v[40:41]
	v_lshl_add_u64 v[24:25], v[24:25], 3, v[32:33]
	v_mov_b32_e32 v39, v40
	v_lshl_add_u64 v[36:37], v[36:37], 3, v[32:33]
	v_lshl_add_u64 v[48:49], v[38:39], 3, v[32:33]
	global_load_dwordx2 v[42:43], v[24:25], off
	global_load_dwordx2 v[40:41], v[36:37], off
	;; [unrolled: 1-line block ×4, first 2 shown]
	v_cmp_gt_u32_e64 s[0:1], 22, v70
	v_mov_b32_e32 v25, 0
	v_mov_b32_e32 v24, 0
                                        ; implicit-def: $vgpr37
	s_and_saveexec_b64 s[6:7], s[0:1]
	s_cbranch_execz .LBB0_14
; %bb.13:
	v_add_u32_e32 v37, 0x1b8, v70
	v_mad_u64_u32 v[24:25], s[0:1], s8, v37, 0
	v_mov_b32_e32 v36, v25
	v_mad_u64_u32 v[36:37], s[0:1], s9, v37, v[36:37]
	v_mov_b32_e32 v25, v36
	v_add_u32_e32 v37, 0x386, v70
	v_lshl_add_u64 v[46:47], v[24:25], 3, v[32:33]
	v_mad_u64_u32 v[24:25], s[0:1], s8, v37, 0
	v_mov_b32_e32 v36, v25
	v_mad_u64_u32 v[36:37], s[0:1], s9, v37, v[36:37]
	v_mov_b32_e32 v25, v36
	v_lshl_add_u64 v[48:49], v[24:25], 3, v[32:33]
	global_load_dwordx2 v[24:25], v[46:47], off
	global_load_dwordx2 v[36:37], v[48:49], off
.LBB0_14:
	s_or_b64 exec, exec, s[6:7]
.LBB0_15:
	s_or_b64 exec, exec, s[2:3]
	s_waitcnt vmcnt(18)
	v_sub_f32_e32 v47, v0, v4
	v_fma_f32 v46, v0, 2.0, -v47
	v_lshl_add_u32 v64, v70, 3, 0
	s_waitcnt vmcnt(16)
	v_sub_f32_e32 v49, v2, v6
	ds_write_b64 v64, v[46:47]
	s_waitcnt vmcnt(14)
	v_sub_f32_e32 v47, v8, v12
	v_fma_f32 v48, v2, 2.0, -v49
	v_fma_f32 v46, v8, 2.0, -v47
	v_lshl_add_u32 v8, v71, 3, 0
	v_lshl_add_u32 v2, v58, 3, 0
	ds_write_b64 v8, v[48:49]
	ds_write_b64 v2, v[46:47]
	s_waitcnt vmcnt(12)
	v_sub_f32_e32 v47, v10, v14
	v_fma_f32 v46, v10, 2.0, -v47
	v_lshl_add_u32 v4, v59, 3, 0
	ds_write_b64 v4, v[46:47]
	s_waitcnt vmcnt(10)
	v_sub_f32_e32 v47, v16, v20
	v_fma_f32 v46, v16, 2.0, -v47
	v_lshl_add_u32 v6, v60, 3, 0
	ds_write_b64 v6, v[46:47]
	s_waitcnt vmcnt(8)
	v_sub_f32_e32 v47, v18, v22
	v_fma_f32 v46, v18, 2.0, -v47
	v_lshl_add_u32 v12, v61, 3, 0
	ds_write_b64 v12, v[46:47]
	s_waitcnt vmcnt(6)
	v_sub_f32_e32 v47, v26, v30
	v_fma_f32 v46, v26, 2.0, -v47
	v_lshl_add_u32 v22, v62, 3, 0
	ds_write_b64 v22, v[46:47]
	s_waitcnt vmcnt(4)
	v_sub_f32_e32 v47, v28, v34
	v_fma_f32 v46, v28, 2.0, -v47
	v_lshl_add_u32 v63, v66, 3, 0
	ds_write_b64 v63, v[46:47]
	s_waitcnt vmcnt(2)
	v_sub_f32_e32 v47, v42, v40
	v_fma_f32 v46, v42, 2.0, -v47
	v_lshl_add_u32 v69, v67, 3, 0
	ds_write_b64 v69, v[46:47]
	s_waitcnt vmcnt(0)
	v_sub_f32_e32 v47, v44, v38
	v_fma_f32 v46, v44, 2.0, -v47
	v_lshl_add_u32 v44, v68, 3, 0
	v_pk_add_f32 v[36:37], v[24:25], v[36:37] neg_lo:[0,1] neg_hi:[0,1]
	v_add_u32_e32 v14, 0x1b8, v70
	ds_write_b64 v44, v[46:47]
	v_cmp_gt_u32_e64 s[0:1], 22, v70
	v_lshl_add_u32 v10, v14, 3, 0
	v_fma_f32 v46, v24, 2.0, -v36
	s_and_saveexec_b64 s[2:3], s[0:1]
	s_cbranch_execz .LBB0_17
; %bb.16:
	v_mov_b32_e32 v47, v36
	ds_write_b64 v10, v[46:47]
.LBB0_17:
	s_or_b64 exec, exec, s[2:3]
	v_lshl_add_u32 v72, v70, 2, 0
	v_add_u32_e32 v0, 0x400, v72
	v_add_u32_e32 v26, 0x800, v72
	s_waitcnt lgkmcnt(0)
	; wave barrier
	s_waitcnt lgkmcnt(0)
	ds_read2_b32 v[48:49], v0 offset0:206 offset1:250
	v_lshl_add_u32 v73, v71, 2, 0
	ds_read_b32 v18, v72
	ds_read_b32 v20, v73
	v_lshlrev_b32_e32 v0, 2, v58
	ds_read2_b32 v[50:51], v26 offset0:38 offset1:82
	v_lshlrev_b32_e32 v16, 2, v59
	v_lshlrev_b32_e32 v47, 2, v60
	ds_read2_b32 v[52:53], v26 offset0:126 offset1:170
	v_lshlrev_b32_e32 v65, 2, v61
	v_lshlrev_b32_e32 v74, 2, v62
	v_add_u32_e32 v26, 0xa00, v72
	v_lshlrev_b32_e32 v75, 2, v66
	v_lshlrev_b32_e32 v76, 2, v67
	v_sub_u32_e32 v24, v2, v0
	v_sub_u32_e32 v28, v4, v16
	;; [unrolled: 1-line block ×5, first 2 shown]
	ds_read2_b32 v[54:55], v26 offset0:86 offset1:130
	v_sub_u32_e32 v40, v63, v75
	v_sub_u32_e32 v42, v69, v76
	v_add_u32_e32 v26, 0xc00, v72
	v_lshlrev_b32_e32 v77, 2, v68
	ds_read2_b32 v[56:57], v26 offset0:46 offset1:90
	v_sub_u32_e32 v78, v44, v77
	ds_read_b32 v24, v24
	ds_read_b32 v26, v28
	;; [unrolled: 1-line block ×8, first 2 shown]
	s_and_saveexec_b64 s[2:3], s[0:1]
	s_cbranch_execz .LBB0_19
; %bb.18:
	ds_read_b32 v46, v72 offset:1760
	ds_read_b32 v36, v72 offset:3608
.LBB0_19:
	s_or_b64 exec, exec, s[2:3]
	v_sub_u32_e32 v79, 0, v75
	v_sub_f32_e32 v75, v1, v5
	v_sub_u32_e32 v82, 0, v0
	v_sub_u32_e32 v81, 0, v16
	;; [unrolled: 1-line block ×7, first 2 shown]
	v_fma_f32 v74, v1, 2.0, -v75
	v_sub_f32_e32 v85, v3, v7
	v_sub_f32_e32 v87, v9, v13
	;; [unrolled: 1-line block ×9, first 2 shown]
	v_fma_f32 v0, v25, 2.0, -v37
	v_fma_f32 v84, v3, 2.0, -v85
	;; [unrolled: 1-line block ×10, first 2 shown]
	s_waitcnt lgkmcnt(0)
	; wave barrier
	s_waitcnt lgkmcnt(0)
	ds_write_b64 v64, v[74:75]
	ds_write_b64 v8, v[84:85]
	ds_write_b64 v2, v[86:87]
	ds_write_b64 v4, v[88:89]
	ds_write_b64 v6, v[90:91]
	ds_write_b64 v12, v[92:93]
	ds_write_b64 v22, v[94:95]
	ds_write_b64 v63, v[96:97]
	ds_write_b64 v69, v[98:99]
	ds_write_b64 v44, v[100:101]
	s_and_saveexec_b64 s[2:3], s[0:1]
	s_cbranch_execz .LBB0_21
; %bb.20:
	v_mov_b32_e32 v1, v37
	ds_write_b64 v10, v[0:1]
.LBB0_21:
	s_or_b64 exec, exec, s[2:3]
	v_add_u32_e32 v1, 0x400, v72
	v_add_u32_e32 v41, v2, v82
	;; [unrolled: 1-line block ×7, first 2 shown]
	s_waitcnt lgkmcnt(0)
	; wave barrier
	s_waitcnt lgkmcnt(0)
	ds_read2_b32 v[8:9], v1 offset0:206 offset1:250
	ds_read_b32 v17, v72
	ds_read_b32 v1, v73
	ds_read2_b32 v[10:11], v2 offset0:38 offset1:82
	ds_read2_b32 v[2:3], v2 offset0:126 offset1:170
	v_add_u32_e32 v16, v12, v16
	v_add_u32_e32 v65, v22, v65
	ds_read2_b32 v[4:5], v4 offset0:86 offset1:130
	v_add_u32_e32 v22, v63, v79
	v_add_u32_e32 v12, v69, v78
	ds_read2_b32 v[6:7], v6 offset0:46 offset1:90
	v_add_u32_e32 v63, v44, v77
	ds_read_b32 v43, v41
	ds_read_b32 v39, v64
	;; [unrolled: 1-line block ×8, first 2 shown]
	v_lshlrev_b32_e32 v35, 1, v70
	v_lshlrev_b32_e32 v45, 1, v71
	;; [unrolled: 1-line block ×10, first 2 shown]
	s_and_saveexec_b64 s[2:3], s[0:1]
	s_cbranch_execz .LBB0_23
; %bb.22:
	ds_read_b32 v0, v72 offset:1760
	ds_read_b32 v37, v72 offset:3608
.LBB0_23:
	s_or_b64 exec, exec, s[2:3]
	v_and_b32_e32 v23, 1, v70
	v_lshlrev_b32_e32 v12, 3, v23
	global_load_dwordx2 v[12:13], v12, s[4:5]
	s_movk_i32 s2, 0x7c
	s_movk_i32 s7, 0x1fc
	;; [unrolled: 1-line block ×4, first 2 shown]
	v_and_or_b32 v35, v35, s2, v23
	v_and_or_b32 v67, v74, s7, v23
	;; [unrolled: 1-line block ×8, first 2 shown]
	v_lshl_add_u32 v44, v35, 2, 0
	v_lshl_add_u32 v66, v67, 2, 0
	;; [unrolled: 1-line block ×8, first 2 shown]
	s_movk_i32 s3, 0xfc
	v_and_or_b32 v45, v45, s3, v23
	v_and_or_b32 v47, v47, s7, v23
	s_waitcnt lgkmcnt(0)
	; wave barrier
	s_waitcnt lgkmcnt(0)
	v_lshl_add_u32 v45, v45, 2, 0
	v_lshl_add_u32 v47, v47, 2, 0
	s_waitcnt vmcnt(0)
	v_mul_f32_e32 v35, v8, v13
	v_mul_f32_e32 v79, v11, v13
	;; [unrolled: 1-line block ×10, first 2 shown]
	v_fma_f32 v35, v48, v12, -v35
	v_fma_f32 v79, v51, v12, -v79
	v_mul_f32_e32 v86, v37, v13
	v_fma_f32 v68, v49, v12, -v68
	v_fma_f32 v78, v50, v12, -v78
	;; [unrolled: 1-line block ×8, first 2 shown]
	v_sub_f32_e32 v87, v18, v35
	v_sub_f32_e32 v79, v26, v79
	v_fma_f32 v86, v36, v12, -v86
	v_sub_f32_e32 v68, v20, v68
	v_sub_f32_e32 v78, v24, v78
	;; [unrolled: 1-line block ×8, first 2 shown]
	v_fma_f32 v18, v18, 2.0, -v87
	v_fma_f32 v26, v26, 2.0, -v79
	v_sub_f32_e32 v35, v46, v86
	v_fma_f32 v20, v20, 2.0, -v68
	v_fma_f32 v24, v24, 2.0, -v78
	;; [unrolled: 1-line block ×8, first 2 shown]
	ds_write2_b32 v44, v18, v87 offset1:2
	ds_write2_b32 v45, v20, v68 offset1:2
	;; [unrolled: 1-line block ×10, first 2 shown]
	v_lshlrev_b32_e32 v26, 1, v14
	s_and_saveexec_b64 s[2:3], s[0:1]
	s_cbranch_execz .LBB0_25
; %bb.24:
	v_and_or_b32 v14, v26, s6, v23
	v_lshl_add_u32 v14, v14, 2, 0
	v_fma_f32 v18, v46, 2.0, -v35
	ds_write2_b32 v14, v18, v35 offset1:2
.LBB0_25:
	s_or_b64 exec, exec, s[2:3]
	v_mul_f32_e32 v14, v48, v13
	v_fmac_f32_e32 v14, v8, v12
	v_mul_f32_e32 v8, v49, v13
	v_fmac_f32_e32 v8, v9, v12
	;; [unrolled: 2-line block ×11, first 2 shown]
	v_sub_f32_e32 v28, v17, v14
	v_sub_f32_e32 v38, v1, v8
	;; [unrolled: 1-line block ×5, first 2 shown]
	v_add_u32_e32 v34, 0x800, v72
	v_add_u32_e32 v37, 0x400, v72
	;; [unrolled: 1-line block ×3, first 2 shown]
	v_fma_f32 v30, v17, 2.0, -v28
	v_fma_f32 v40, v1, 2.0, -v38
	v_sub_f32_e32 v42, v43, v9
	v_sub_f32_e32 v46, v39, v10
	;; [unrolled: 1-line block ×5, first 2 shown]
	v_fma_f32 v52, v25, 2.0, -v51
	v_fma_f32 v54, v21, 2.0, -v53
	;; [unrolled: 1-line block ×3, first 2 shown]
	v_sub_f32_e32 v36, v0, v7
	s_waitcnt lgkmcnt(0)
	; wave barrier
	s_waitcnt lgkmcnt(0)
	ds_read2_b32 v[12:13], v34 offset0:104 offset1:148
	ds_read_b32 v21, v72
	ds_read_b32 v19, v73
	ds_read2_b32 v[10:11], v37 offset0:96 offset1:140
	ds_read2_b32 v[8:9], v34 offset0:192 offset1:236
	;; [unrolled: 1-line block ×4, first 2 shown]
	ds_read_b32 v20, v41
	ds_read_b32 v18, v64
	;; [unrolled: 1-line block ×4, first 2 shown]
	ds_read2_b32 v[6:7], v34 offset0:16 offset1:60
	ds_read_b32 v25, v22
	ds_read_b32 v1, v65
	ds_read_b32 v24, v72 offset:3520
	v_fma_f32 v43, v43, 2.0, -v42
	v_fma_f32 v39, v39, 2.0, -v46
	;; [unrolled: 1-line block ×5, first 2 shown]
	s_waitcnt lgkmcnt(0)
	; wave barrier
	s_waitcnt lgkmcnt(0)
	ds_write2_b32 v44, v30, v28 offset1:2
	ds_write2_b32 v45, v40, v38 offset1:2
	;; [unrolled: 1-line block ×10, first 2 shown]
	s_and_saveexec_b64 s[2:3], s[0:1]
	s_cbranch_execz .LBB0_27
; %bb.26:
	s_movk_i32 s0, 0x3fc
	v_and_or_b32 v23, v26, s0, v23
	v_fma_f32 v0, v0, 2.0, -v36
	v_lshl_add_u32 v23, v23, 2, 0
	ds_write2_b32 v23, v0, v36 offset1:2
.LBB0_27:
	s_or_b64 exec, exec, s[2:3]
	v_and_b32_e32 v0, 3, v70
	v_lshlrev_b32_e32 v23, 4, v0
	s_waitcnt lgkmcnt(0)
	; wave barrier
	s_waitcnt lgkmcnt(0)
	global_load_dwordx4 v[26:29], v23, s[4:5] offset:16
	ds_read_b32 v40, v22
	ds_read2_b32 v[22:23], v34 offset0:104 offset1:148
	ds_read_b32 v48, v72 offset:3520
	ds_read_b32 v66, v72
	ds_read_b32 v67, v73
	ds_read2_b32 v[30:31], v37 offset0:96 offset1:140
	ds_read2_b32 v[38:39], v34 offset0:192 offset1:236
	;; [unrolled: 1-line block ×4, first 2 shown]
	ds_read_b32 v69, v41
	ds_read_b32 v75, v64
	;; [unrolled: 1-line block ×4, first 2 shown]
	ds_read2_b32 v[46:47], v34 offset0:16 offset1:60
	ds_read_b32 v76, v65
	s_waitcnt lgkmcnt(0)
	; wave barrier
	s_waitcnt lgkmcnt(0)
	s_movk_i32 s0, 0xab
	s_mov_b32 s1, 0x3f955555
	s_mov_b32 s10, 0x3ee1c552
	;; [unrolled: 1-line block ×7, first 2 shown]
	s_waitcnt vmcnt(0)
	v_mul_f32_e32 v49, v40, v27
	v_mul_f32_e32 v51, v22, v29
	;; [unrolled: 1-line block ×4, first 2 shown]
	v_fma_f32 v12, v12, v28, -v51
	v_fmac_f32_e32 v52, v22, v28
	v_fma_f32 v22, v25, v26, -v49
	v_mul_f32_e32 v53, v30, v27
	v_mul_f32_e32 v54, v10, v27
	;; [unrolled: 1-line block ×24, first 2 shown]
	v_fmac_f32_e32 v50, v40, v26
	v_add_f32_e32 v25, v22, v12
	v_fma_f32 v13, v13, v28, -v55
	v_fmac_f32_e32 v56, v23, v28
	v_fma_f32 v10, v10, v26, -v53
	v_fmac_f32_e32 v54, v30, v26
	;; [unrolled: 2-line block ×12, first 2 shown]
	v_add_f32_e32 v24, v21, v22
	v_sub_f32_e32 v26, v50, v52
	v_add_f32_e32 v28, v66, v50
	v_add_f32_e32 v30, v50, v52
	v_fmac_f32_e32 v21, -0.5, v25
	v_add_f32_e32 v24, v24, v12
	v_add_f32_e32 v25, v28, v52
	v_fmac_f32_e32 v66, -0.5, v30
	v_fmamk_f32 v28, v26, 0x3f5db3d7, v21
	v_fmac_f32_e32 v21, 0xbf5db3d7, v26
	v_sub_f32_e32 v12, v22, v12
	v_add_f32_e32 v26, v10, v13
	v_fmamk_f32 v22, v12, 0xbf5db3d7, v66
	v_fmac_f32_e32 v66, 0x3f5db3d7, v12
	v_add_f32_e32 v12, v19, v10
	v_fmac_f32_e32 v19, -0.5, v26
	v_sub_f32_e32 v26, v54, v56
	v_add_f32_e32 v31, v54, v56
	v_fmamk_f32 v30, v26, 0x3f5db3d7, v19
	v_fmac_f32_e32 v19, 0xbf5db3d7, v26
	v_add_f32_e32 v26, v67, v54
	v_fmac_f32_e32 v67, -0.5, v31
	v_sub_f32_e32 v10, v10, v13
	v_add_f32_e32 v31, v11, v8
	v_add_f32_e32 v12, v12, v13
	v_fmamk_f32 v13, v10, 0xbf5db3d7, v67
	v_fmac_f32_e32 v67, 0x3f5db3d7, v10
	v_add_f32_e32 v10, v20, v11
	v_fmac_f32_e32 v20, -0.5, v31
	v_sub_f32_e32 v31, v74, v78
	v_add_f32_e32 v39, v74, v78
	;; [unrolled: 7-line block ×3, first 2 shown]
	v_fmamk_f32 v11, v8, 0xbf5db3d7, v69
	v_fmac_f32_e32 v69, 0x3f5db3d7, v8
	v_add_f32_e32 v8, v18, v4
	v_fmac_f32_e32 v18, -0.5, v39
	v_sub_f32_e32 v39, v80, v82
	v_fmamk_f32 v40, v39, 0x3f5db3d7, v18
	v_fmac_f32_e32 v18, 0xbf5db3d7, v39
	v_add_f32_e32 v39, v75, v80
	v_add_f32_e32 v42, v39, v82
	;; [unrolled: 1-line block ×3, first 2 shown]
	v_fmac_f32_e32 v75, -0.5, v39
	v_sub_f32_e32 v4, v4, v9
	v_add_f32_e32 v39, v5, v2
	v_add_f32_e32 v8, v8, v9
	v_fmamk_f32 v9, v4, 0xbf5db3d7, v75
	v_fmac_f32_e32 v75, 0x3f5db3d7, v4
	v_add_f32_e32 v4, v17, v5
	v_fmac_f32_e32 v17, -0.5, v39
	v_sub_f32_e32 v39, v84, v86
	v_fmamk_f32 v43, v39, 0x3f5db3d7, v17
	v_fmac_f32_e32 v17, 0xbf5db3d7, v39
	v_add_f32_e32 v39, v15, v84
	v_add_f32_e32 v77, v39, v86
	;; [unrolled: 1-line block ×4, first 2 shown]
	v_fmac_f32_e32 v15, -0.5, v39
	v_sub_f32_e32 v2, v5, v2
	v_add_f32_e32 v39, v6, v3
	v_fmamk_f32 v5, v2, 0xbf5db3d7, v15
	v_fmac_f32_e32 v15, 0x3f5db3d7, v2
	v_add_f32_e32 v2, v14, v6
	v_fmac_f32_e32 v14, -0.5, v39
	v_sub_f32_e32 v39, v88, v90
	v_fmamk_f32 v44, v39, 0x3f5db3d7, v14
	v_fmac_f32_e32 v14, 0xbf5db3d7, v39
	v_add_f32_e32 v39, v16, v88
	v_add_f32_e32 v31, v31, v78
	;; [unrolled: 1-line block ×5, first 2 shown]
	v_fmac_f32_e32 v16, -0.5, v39
	v_sub_f32_e32 v3, v6, v3
	v_add_f32_e32 v39, v7, v23
	v_fmamk_f32 v6, v3, 0xbf5db3d7, v16
	v_fmac_f32_e32 v16, 0x3f5db3d7, v3
	v_add_f32_e32 v3, v1, v7
	v_fmac_f32_e32 v1, -0.5, v39
	v_sub_f32_e32 v39, v27, v29
	v_fmamk_f32 v45, v39, 0x3f5db3d7, v1
	v_fmac_f32_e32 v1, 0xbf5db3d7, v39
	v_add_f32_e32 v39, v76, v27
	v_add_f32_e32 v27, v27, v29
	v_fmac_f32_e32 v76, -0.5, v27
	v_sub_f32_e32 v7, v7, v23
	v_add_f32_e32 v3, v3, v23
	v_fmamk_f32 v23, v7, 0xbf5db3d7, v76
	v_fmac_f32_e32 v76, 0x3f5db3d7, v7
	v_lshrrev_b32_e32 v7, 2, v70
	v_mul_u32_u24_e32 v7, 12, v7
	v_or_b32_e32 v7, v7, v0
	v_lshl_add_u32 v7, v7, 2, 0
	ds_write2_b32 v7, v24, v28 offset1:4
	ds_write_b32 v7, v21 offset:32
	v_lshrrev_b32_e32 v21, 2, v71
	v_mul_lo_u32 v21, v21, 12
	v_or_b32_e32 v21, v21, v0
	v_lshl_add_u32 v21, v21, 2, 0
	ds_write2_b32 v21, v12, v30 offset1:4
	ds_write_b32 v21, v19 offset:32
	v_lshrrev_b32_e32 v12, 2, v58
	v_mul_lo_u32 v12, v12, 12
	;; [unrolled: 6-line block ×6, first 2 shown]
	v_or_b32_e32 v0, v2, v0
	v_lshl_add_u32 v0, v0, 2, 0
	v_add_u32_e32 v74, 0x600, v72
	v_add_u32_e32 v59, 0xa00, v72
	;; [unrolled: 1-line block ×3, first 2 shown]
	v_add_f32_e32 v26, v26, v56
	v_add_f32_e32 v79, v39, v29
	ds_write2_b32 v0, v3, v45 offset1:4
	ds_write_b32 v0, v1 offset:32
	s_waitcnt lgkmcnt(0)
	; wave barrier
	s_waitcnt lgkmcnt(0)
	ds_read2_b32 v[38:39], v72 offset1:176
	ds_read2_b32 v[52:53], v74 offset0:100 offset1:144
	ds_read2_b32 v[46:47], v34 offset0:148 offset1:192
	;; [unrolled: 1-line block ×3, first 2 shown]
	ds_read_b32 v83, v63
	ds_read_b32 v81, v73
	ds_read2_b32 v[50:51], v82 offset0:92 offset1:180
	ds_read2_b32 v[54:55], v37 offset0:96 offset1:184
	;; [unrolled: 1-line block ×4, first 2 shown]
	ds_read_b32 v84, v65
	ds_read_b32 v85, v64
	;; [unrolled: 1-line block ×3, first 2 shown]
	s_waitcnt lgkmcnt(0)
	; wave barrier
	s_waitcnt lgkmcnt(0)
	ds_write2_b32 v7, v25, v22 offset1:4
	ds_write_b32 v7, v66 offset:32
	ds_write2_b32 v21, v26, v13 offset1:4
	ds_write_b32 v21, v67 offset:32
	;; [unrolled: 2-line block ×7, first 2 shown]
	v_mul_lo_u16_sdwa v0, v70, s0 dst_sel:DWORD dst_unused:UNUSED_PAD src0_sel:BYTE_0 src1_sel:DWORD
	v_lshrrev_b16_e32 v75, 11, v0
	v_mul_lo_u16_e32 v0, 12, v75
	v_sub_u16_e32 v76, v70, v0
	v_mov_b32_e32 v24, 6
	v_mul_u32_u24_sdwa v0, v76, v24 dst_sel:DWORD dst_unused:UNUSED_PAD src0_sel:BYTE_0 src1_sel:DWORD
	v_lshlrev_b32_e32 v0, 3, v0
	s_waitcnt lgkmcnt(0)
	; wave barrier
	s_waitcnt lgkmcnt(0)
	global_load_dwordx4 v[20:23], v0, s[4:5] offset:80
	global_load_dwordx4 v[12:15], v0, s[4:5] offset:96
	;; [unrolled: 1-line block ×3, first 2 shown]
	v_mul_lo_u16_sdwa v0, v71, s0 dst_sel:DWORD dst_unused:UNUSED_PAD src0_sel:BYTE_0 src1_sel:DWORD
	v_lshrrev_b16_e32 v77, 11, v0
	v_mul_lo_u16_e32 v0, 12, v77
	v_sub_u16_e32 v78, v71, v0
	v_mul_u32_u24_sdwa v0, v78, v24 dst_sel:DWORD dst_unused:UNUSED_PAD src0_sel:BYTE_0 src1_sel:DWORD
	v_lshlrev_b32_e32 v25, 3, v0
	global_load_dwordx4 v[4:7], v25, s[4:5] offset:80
	global_load_dwordx4 v[16:19], v25, s[4:5] offset:96
	;; [unrolled: 1-line block ×3, first 2 shown]
	v_mul_lo_u16_sdwa v25, v58, s0 dst_sel:DWORD dst_unused:UNUSED_PAD src0_sel:BYTE_0 src1_sel:DWORD
	v_lshrrev_b16_e32 v79, 11, v25
	v_mul_lo_u16_e32 v25, 12, v79
	v_sub_u16_e32 v80, v58, v25
	v_mul_u32_u24_sdwa v24, v80, v24 dst_sel:DWORD dst_unused:UNUSED_PAD src0_sel:BYTE_0 src1_sel:DWORD
	v_lshlrev_b32_e32 v86, 3, v24
	global_load_dwordx4 v[24:27], v86, s[4:5] offset:112
	global_load_dwordx4 v[28:31], v86, s[4:5] offset:96
	ds_read2_b32 v[42:43], v72 offset1:176
	ds_read_b32 v90, v63
	ds_read2_b32 v[62:63], v74 offset0:100 offset1:144
	ds_read2_b32 v[60:61], v34 offset0:148 offset1:192
	;; [unrolled: 1-line block ×3, first 2 shown]
	ds_read_b32 v89, v65
	ds_read_b32 v91, v64
	ds_read2_b32 v[66:67], v37 offset0:96 offset1:184
	ds_read2_b32 v[64:65], v34 offset0:60 offset1:104
	;; [unrolled: 1-line block ×3, first 2 shown]
	ds_read_b32 v87, v41
	global_load_dwordx4 v[96:99], v86, s[4:5] offset:80
	s_mov_b32 s0, 0x3f4a47b2
	s_waitcnt vmcnt(8) lgkmcnt(4)
	v_mul_f32_e32 v41, v91, v21
	v_fma_f32 v88, v85, v20, -v41
	v_mul_f32_e32 v85, v85, v21
	v_fmac_f32_e32 v85, v91, v20
	v_mul_f32_e32 v20, v89, v23
	v_fma_f32 v86, v84, v22, -v20
	v_mul_f32_e32 v84, v84, v23
	s_waitcnt vmcnt(7)
	v_mul_f32_e32 v20, v90, v13
	v_fmac_f32_e32 v84, v89, v22
	v_fma_f32 v89, v83, v12, -v20
	v_mul_f32_e32 v83, v83, v13
	v_fmac_f32_e32 v83, v90, v12
	v_mul_f32_e32 v12, v63, v15
	v_fma_f32 v90, v53, v14, -v12
	v_mul_f32_e32 v91, v53, v15
	s_waitcnt vmcnt(6)
	v_mul_f32_e32 v12, v60, v9
	v_mul_f32_e32 v93, v46, v9
	v_fmac_f32_e32 v91, v63, v14
	v_fma_f32 v92, v46, v8, -v12
	v_fmac_f32_e32 v93, v60, v8
	v_mul_f32_e32 v8, v59, v11
	v_mul_f32_e32 v95, v45, v11
	v_mov_b32_e32 v12, v39
	v_mov_b32_e32 v13, v55
	s_waitcnt vmcnt(5)
	v_mov_b32_e32 v14, v5
	s_waitcnt vmcnt(4)
	v_mov_b32_e32 v15, v17
	v_fma_f32 v94, v45, v10, -v8
	v_fmac_f32_e32 v95, v59, v10
	v_mov_b32_e32 v8, v43
	s_waitcnt lgkmcnt(3)
	v_mov_b32_e32 v9, v67
	v_mov_b32_e32 v10, v4
	;; [unrolled: 1-line block ×3, first 2 shown]
	v_pk_mul_f32 v[12:13], v[12:13], v[14:15]
	v_mov_b32_e32 v4, v5
	v_pk_fma_f32 v[14:15], v[8:9], v[10:11], v[12:13]
	v_mov_b32_e32 v12, v43
	s_waitcnt lgkmcnt(2)
	v_mov_b32_e32 v13, v64
	v_mov_b32_e32 v5, v19
	;; [unrolled: 1-line block ×5, first 2 shown]
	v_pk_mul_f32 v[4:5], v[12:13], v[4:5]
	v_mov_b32_e32 v53, v51
	v_pk_fma_f32 v[20:21], v[8:9], v[10:11], v[4:5] neg_lo:[0,0,1] neg_hi:[0,0,1]
	v_mov_b32_e32 v9, v16
	s_waitcnt lgkmcnt(1)
	v_mov_b32_e32 v10, v68
	v_mov_b32_e32 v11, v67
	s_waitcnt vmcnt(3)
	v_mov_b32_e32 v16, v3
	v_mov_b32_e32 v4, v56
	v_mov_b32_e32 v5, v55
	v_mov_b32_e32 v8, v2
	v_pk_mul_f32 v[10:11], v[10:11], v[16:17]
	v_mov_b32_e32 v55, v51
	v_pk_fma_f32 v[16:17], v[4:5], v[8:9], v[10:11] neg_lo:[0,0,1] neg_hi:[0,0,1]
	v_mov_b32_e32 v5, v18
	v_mov_b32_e32 v8, v56
	;; [unrolled: 1-line block ×4, first 2 shown]
	v_pk_mul_f32 v[8:9], v[8:9], v[18:19]
	v_mov_b32_e32 v10, v68
	v_mov_b32_e32 v11, v64
	v_mov_b32_e32 v4, v2
	v_pk_fma_f32 v[18:19], v[10:11], v[4:5], v[8:9]
	v_mov_b32_e32 v2, v69
	v_mov_b32_e32 v3, v62
	s_waitcnt vmcnt(2)
	v_mov_b32_e32 v4, v27
	s_waitcnt vmcnt(1)
	v_mov_b32_e32 v5, v29
	v_pk_mul_f32 v[2:3], v[2:3], v[4:5]
	v_mov_b32_e32 v4, v57
	v_mov_b32_e32 v5, v52
	;; [unrolled: 1-line block ×4, first 2 shown]
	v_pk_fma_f32 v[22:23], v[4:5], v[8:9], v[2:3] neg_lo:[0,0,1] neg_hi:[0,0,1]
	ds_read2_b32 v[8:9], v82 offset0:92 offset1:180
	v_mov_b32_e32 v3, v6
	v_mov_b32_e32 v5, v6
	v_mov_b32_e32 v6, v29
	v_pk_mul_f32 v[10:11], v[52:53], v[6:7]
	s_waitcnt lgkmcnt(0)
	v_mov_b32_e32 v67, v9
	s_waitcnt vmcnt(0)
	v_mov_b32_e32 v6, v99
	v_mul_f32_e32 v51, v54, v99
	v_pk_mul_f32 v[6:7], v[66:67], v[6:7]
	v_fmac_f32_e32 v51, v66, v98
	v_mul_f32_e32 v66, v50, v97
	v_mov_b32_e32 v2, v98
	v_fmac_f32_e32 v66, v8, v96
	v_mov_b32_e32 v12, v97
	v_mov_b32_e32 v64, v8
	v_mov_b32_e32 v13, v31
	v_mov_b32_e32 v63, v9
	v_mov_b32_e32 v4, v28
	v_mov_b32_e32 v46, v49
	v_mov_b32_e32 v8, v31
	v_mov_b32_e32 v9, v1
	v_pk_fma_f32 v[6:7], v[54:55], v[2:3], v[6:7] neg_lo:[0,0,1] neg_hi:[0,0,1]
	v_mov_b32_e32 v48, v50
	v_mov_b32_e32 v2, v96
	v_mov_b32_e32 v3, v30
	v_pk_mul_f32 v[12:13], v[64:65], v[12:13]
	v_pk_fma_f32 v[54:55], v[62:63], v[4:5], v[10:11]
	v_mov_b32_e32 v60, v65
	v_mov_b32_e32 v4, v30
	;; [unrolled: 1-line block ×3, first 2 shown]
	v_pk_mul_f32 v[8:9], v[46:47], v[8:9]
	v_mov_b32_e32 v59, v61
	v_mov_b32_e32 v0, v25
	v_mul_f32_e32 v43, v57, v27
	v_pk_fma_f32 v[56:57], v[48:49], v[2:3], v[12:13] neg_lo:[0,0,1] neg_hi:[0,0,1]
	v_pk_fma_f32 v[48:49], v[60:61], v[4:5], v[8:9]
	v_mov_b32_e32 v45, v47
	v_mov_b32_e32 v4, v24
	v_pk_mul_f32 v[0:1], v[58:59], v[0:1]
	v_mul_f32_e32 v53, v44, v25
	v_pk_fma_f32 v[44:45], v[44:45], v[4:5], v[0:1] neg_lo:[0,0,1] neg_hi:[0,0,1]
	v_pk_add_f32 v[12:13], v[16:17], v[20:21]
	v_fmac_f32_e32 v53, v58, v24
	v_pk_add_f32 v[0:1], v[6:7], v[44:45]
	v_mov_b32_e32 v8, v14
	v_mov_b32_e32 v9, v19
	;; [unrolled: 1-line block ×11, first 2 shown]
	v_pk_add_f32 v[4:5], v[54:55], v[48:49] neg_lo:[0,1] neg_hi:[0,1]
	v_pk_add_f32 v[8:9], v[8:9], v[10:11] neg_lo:[0,1] neg_hi:[0,1]
	v_pk_add_f32 v[24:25], v[0:1], v[24:25]
	v_mov_b32_e32 v0, v13
	v_pk_add_f32 v[30:31], v[30:31], v[46:47]
	v_pk_add_f32 v[46:47], v[50:51], v[52:53] neg_lo:[0,1] neg_hi:[0,1]
	v_fmac_f32_e32 v43, v69, v26
	v_pk_add_f32 v[2:3], v[22:23], v[56:57]
	v_pk_add_f32 v[10:11], v[8:9], v[4:5]
	v_pk_add_f32 v[28:29], v[12:13], v[0:1] neg_lo:[0,1] neg_hi:[0,1]
	v_pk_add_f32 v[24:25], v[12:13], v[24:25]
	v_sub_f32_e32 v41, v13, v1
	v_mov_b32_e32 v0, v46
	v_mov_b32_e32 v13, v12
	;; [unrolled: 1-line block ×3, first 2 shown]
	v_sub_f32_e32 v27, v66, v43
	v_mov_b32_e32 v2, v11
	v_mov_b32_e32 v29, v25
	v_add_f32_e32 v25, v81, v25
	v_mul_f32_e32 v24, 0x3d64c772, v41
	v_pk_add_f32 v[12:13], v[0:1], v[12:13] neg_lo:[0,1] neg_hi:[0,1]
	v_add_f32_e32 v0, v46, v47
	v_sub_f32_e32 v39, v5, v8
	v_pk_add_f32 v[10:11], v[8:9], v[2:3]
	v_pk_add_f32 v[4:5], v[8:9], v[4:5] neg_lo:[0,1] neg_hi:[0,1]
	v_pk_fma_f32 v[58:59], v[28:29], s[0:1], v[24:25] neg_lo:[1,0,0] neg_hi:[1,0,0]
	v_add_f32_e32 v52, v0, v27
	v_mov_b32_e32 v26, v31
	v_mov_b32_e32 v1, v46
	;; [unrolled: 1-line block ×4, first 2 shown]
	v_sub_f32_e32 v50, v47, v27
	v_pk_add_f32 v[46:47], v[26:27], v[0:1] neg_lo:[0,1] neg_hi:[0,1]
	v_pk_add_f32 v[0:1], v[30:31], v[26:27]
	v_sub_f32_e32 v62, v30, v31
	v_mov_b32_e32 v58, v3
	v_mov_b32_e32 v2, v3
	;; [unrolled: 1-line block ×4, first 2 shown]
	v_pk_mul_f32 v[4:5], v[10:11], s[10:11]
	v_pk_add_f32 v[2:3], v[2:3], v[30:31] neg_lo:[0,1] neg_hi:[0,1]
	v_mul_f32_e32 v9, 0xbf4a47b2, v28
	v_pk_fma_f32 v[26:27], v[28:29], s[0:1], v[24:25]
	v_pk_fma_f32 v[28:29], v[2:3], s[2:3], v[4:5]
	v_mul_f32_e32 v8, 0x3f5ff5aa, v50
	v_mov_b32_e32 v24, v29
	v_mov_b32_e32 v27, v59
	v_pk_fma_f32 v[10:11], v[10:11], s[10:11], v[24:25]
	v_mov_b32_e32 v24, v59
	v_mul_f32_e32 v30, 0x3ee1c552, v52
	v_pk_add_f32 v[28:29], v[26:27], v[24:25]
	v_mov_b32_e32 v26, v30
	v_pk_fma_f32 v[60:61], v[12:13], s[6:7], v[8:9] neg_lo:[1,0,0] neg_hi:[1,0,0]
	s_mov_b32 s10, 0x3f5ff5aa
	v_pk_add_f32 v[26:27], v[26:27], v[60:61]
	v_pk_mul_f32 v[60:61], v[12:13], s[6:7]
	v_fma_f32 v5, v39, s10, -v5
	v_fmac_f32_e32 v61, 0xbd64c772, v41
	v_mov_b32_e32 v1, v61
	v_add_f32_e32 v41, v4, v5
	s_mov_b32 s1, s3
	v_pk_add_f32 v[58:59], v[0:1], v[58:59]
	v_pk_mul_f32 v[60:61], v[46:47], s[0:1]
	v_pk_add_f32 v[0:1], v[40:41], v[58:59]
	v_sub_f32_e32 v24, v59, v41
	v_mul_f32_e32 v41, 0x3f955555, v58
	v_mov_b32_e32 v40, v61
	v_mov_b32_e32 v5, v0
	v_pk_fma_f32 v[12:13], v[12:13], s[6:7], v[40:41]
	v_pk_add_f32 v[40:41], v[4:5], v[40:41] neg_lo:[0,1] neg_hi:[0,1]
	v_mul_f32_e32 v59, 0xbf5ff5aa, v39
	v_mul_f32_e32 v58, 0x3f3bfb3b, v62
	v_pk_fma_f32 v[58:59], v[2:3], s[2:3], v[58:59] neg_lo:[1,0,0] neg_hi:[1,0,0]
	v_mov_b32_e32 v5, v4
	v_mov_b32_e32 v4, v41
	v_pk_add_f32 v[58:59], v[58:59], v[4:5]
	v_xor_b32_e32 v5, 0x80000000, v8
	v_pk_fma_f32 v[8:9], v[2:3], s[2:3], v[60:61]
	v_pk_mul_f32 v[2:3], v[2:3], s[2:3]
	v_add_f32_e32 v4, v88, v94
	v_mov_b32_e32 v3, v5
	v_add_f32_e32 v13, v86, v92
	v_pk_fma_f32 v[2:3], v[46:47], s[0:1], v[2:3] neg_lo:[1,0,0] neg_hi:[1,0,0]
	v_add_f32_e32 v5, v89, v90
	v_add_f32_e32 v2, v13, v4
	v_sub_f32_e32 v11, v85, v95
	v_sub_f32_e32 v9, v13, v4
	;; [unrolled: 1-line block ×4, first 2 shown]
	v_add_f32_e32 v2, v5, v2
	v_sub_f32_e32 v5, v84, v93
	v_sub_f32_e32 v29, v91, v83
	s_mov_b32 s6, 0xbf3bfb3b
	v_add_f32_e32 v39, v29, v5
	v_sub_f32_e32 v40, v29, v5
	v_sub_f32_e32 v5, v5, v11
	v_add_f32_e32 v46, v38, v2
	v_mul_f32_e32 v4, 0x3f4a47b2, v4
	v_mul_f32_e32 v38, 0xbd64c772, v13
	v_sub_f32_e32 v29, v11, v29
	v_add_f32_e32 v11, v39, v11
	v_fmac_f32_e32 v38, 0x3f3bfb3b, v9
	v_fma_f32 v9, v9, s6, -v4
	v_fmac_f32_e32 v4, 0x3d64c772, v13
	v_mul_f32_e32 v13, 0xbf08b237, v40
	v_mul_f32_e32 v39, 0xbf5ff5aa, v5
	v_fma_f32 v5, v5, s10, -v13
	v_fmac_f32_e32 v13, 0x3eae86e6, v29
	v_fmamk_f32 v29, v29, 0xbeae86e6, v39
	v_fmamk_f32 v2, v2, 0xbf955555, v46
	v_add_f32_e32 v4, v4, v2
	v_add_f32_e32 v38, v38, v2
	;; [unrolled: 1-line block ×3, first 2 shown]
	v_fmac_f32_e32 v13, 0x3ee1c552, v11
	v_fmac_f32_e32 v29, 0x3ee1c552, v11
	v_fma_f32 v31, v62, s6, -v60
	v_add_f32_e32 v60, v29, v2
	v_sub_f32_e32 v61, v2, v29
	v_add_f32_e32 v62, v13, v4
	v_sub_f32_e32 v63, v4, v13
	v_mov_b32_e32 v9, v3
	v_mov_b32_e32 v13, v41
	;; [unrolled: 1-line block ×4, first 2 shown]
	v_pk_add_f32 v[12:13], v[30:31], v[12:13]
	v_pk_add_f32 v[30:31], v[8:9], v[2:3]
	v_mov_b32_e32 v3, v58
	v_mov_b32_e32 v2, v13
	;; [unrolled: 1-line block ×4, first 2 shown]
	v_fmac_f32_e32 v5, 0x3ee1c552, v11
	v_pk_add_f32 v[2:3], v[2:3], v[8:9] neg_lo:[0,1] neg_hi:[0,1]
	v_pk_add_f32 v[8:9], v[30:31], v[12:13]
	v_mov_b32_e32 v13, 2
	v_sub_f32_e32 v50, v38, v5
	v_add_f32_e32 v52, v5, v38
	v_pk_add_f32 v[4:5], v[58:59], v[26:27]
	v_pk_add_f32 v[38:39], v[26:27], v[58:59] neg_lo:[0,1] neg_hi:[0,1]
	v_mov_b32_e32 v11, v12
	v_mul_u32_u24_e32 v12, 0x150, v75
	v_lshlrev_b32_sdwa v26, v13, v76 dst_sel:DWORD dst_unused:UNUSED_PAD src0_sel:DWORD src1_sel:BYTE_0
	v_add3_u32 v40, 0, v12, v26
	v_mul_u32_u24_e32 v12, 0x150, v77
	v_lshlrev_b32_sdwa v26, v13, v78 dst_sel:DWORD dst_unused:UNUSED_PAD src0_sel:DWORD src1_sel:BYTE_0
	v_add_f32_e32 v64, v10, v28
	v_mov_b32_e32 v29, v30
	v_add3_u32 v41, 0, v12, v26
	ds_read_b32 v47, v73
	v_pk_add_f32 v[10:11], v[28:29], v[10:11] neg_lo:[0,1] neg_hi:[0,1]
	s_waitcnt lgkmcnt(0)
	; wave barrier
	s_waitcnt lgkmcnt(0)
	ds_write2_b32 v40, v46, v62 offset1:12
	ds_write2_b32 v40, v60, v50 offset0:24 offset1:36
	ds_write2_b32 v40, v52, v61 offset0:48 offset1:60
	ds_write_b32 v40, v63 offset:288
	ds_write2_b32 v41, v25, v64 offset1:12
	ds_write2_b32 v41, v5, v24 offset0:24 offset1:36
	ds_write2_b32 v41, v1, v39 offset0:48 offset1:60
	ds_write_b32 v41, v10 offset:288
	v_mul_u32_u24_e32 v5, 0x150, v79
	v_lshlrev_b32_sdwa v12, v13, v80 dst_sel:DWORD dst_unused:UNUSED_PAD src0_sel:DWORD src1_sel:BYTE_0
	v_add3_u32 v46, 0, v5, v12
	ds_write2_b32 v46, v0, v8 offset1:12
	ds_write2_b32 v46, v9, v3 offset0:24 offset1:36
	ds_write2_b32 v46, v4, v2 offset0:48 offset1:60
	ds_write_b32 v46, v11 offset:288
	s_waitcnt lgkmcnt(0)
	; wave barrier
	s_waitcnt lgkmcnt(0)
	ds_read2_b32 v[12:13], v72 offset1:84
	ds_read2_b32 v[30:31], v72 offset0:168 offset1:252
	ds_read2_b32 v[26:27], v37 offset0:80 offset1:164
	;; [unrolled: 1-line block ×4, first 2 shown]
	ds_read_b32 v38, v72 offset:3360
	v_cmp_gt_u32_e64 s[0:1], 40, v70
	v_cmp_lt_u32_e64 s[2:3], 39, v70
	s_and_saveexec_b64 s[6:7], s[2:3]
	s_xor_b64 s[6:7], exec, s[6:7]
; %bb.28:
	v_mov_b32_e32 v5, v39
; %bb.29:
	s_andn2_saveexec_b64 s[6:7], s[6:7]
	s_cbranch_execz .LBB0_31
; %bb.30:
	v_add_u32_e32 v0, 0x400, v72
	ds_read_b32 v1, v73
	ds_read2_b32 v[10:11], v72 offset0:128 offset1:212
	ds_read2_b32 v[4:5], v0 offset0:40 offset1:124
	v_add_u32_e32 v0, 0x600, v72
	ds_read2_b32 v[2:3], v0 offset0:80 offset1:164
	v_add_u32_e32 v0, 0x800, v72
	;; [unrolled: 2-line block ×3, first 2 shown]
	ds_read2_b32 v[34:35], v0 offset0:32 offset1:116
	s_waitcnt lgkmcnt(3)
	v_mov_b32_e32 v0, v4
	v_mov_b32_e32 v8, v5
	s_waitcnt lgkmcnt(2)
	v_mov_b32_e32 v9, v2
	s_waitcnt lgkmcnt(1)
	v_mov_b32_e32 v4, v58
	v_mov_b32_e32 v5, v10
	;; [unrolled: 1-line block ×3, first 2 shown]
	s_waitcnt lgkmcnt(0)
	v_mov_b32_e32 v11, v34
	v_mov_b32_e32 v2, v59
.LBB0_31:
	s_or_b64 exec, exec, s[6:7]
	v_add_f32_e32 v34, v85, v95
	v_add_f32_e32 v39, v84, v93
	v_sub_f32_e32 v37, v88, v94
	v_sub_f32_e32 v50, v86, v92
	v_add_f32_e32 v52, v83, v91
	v_sub_f32_e32 v58, v90, v89
	v_add_f32_e32 v59, v39, v34
	v_sub_f32_e32 v60, v39, v34
	v_sub_f32_e32 v34, v34, v52
	;; [unrolled: 1-line block ×3, first 2 shown]
	v_add_f32_e32 v61, v58, v50
	v_sub_f32_e32 v62, v58, v50
	v_sub_f32_e32 v50, v50, v37
	v_add_f32_e32 v52, v52, v59
	v_sub_f32_e32 v58, v37, v58
	v_add_f32_e32 v37, v61, v37
	v_add_f32_e32 v67, v42, v52
	v_mul_f32_e32 v34, 0x3f4a47b2, v34
	v_mul_f32_e32 v42, 0x3d64c772, v39
	;; [unrolled: 1-line block ×3, first 2 shown]
	s_mov_b32 s13, 0x3f5ff5aa
	v_mul_f32_e32 v61, 0x3f5ff5aa, v50
	s_mov_b32 s14, 0x3f3bfb3b
	s_mov_b32 s16, 0xbf3bfb3b
	;; [unrolled: 1-line block ×3, first 2 shown]
	v_fmamk_f32 v52, v52, 0xbf955555, v67
	s_mov_b32 s15, 0x3f955555
	v_fma_f32 v42, v60, s14, -v42
	v_fma_f32 v60, v60, s16, -v34
	v_fmac_f32_e32 v34, 0x3d64c772, v39
	v_fma_f32 v39, v50, s13, -v59
	v_fma_f32 v50, v58, s12, -v61
	v_pk_add_f32 v[18:19], v[14:15], v[18:19]
	v_pk_add_f32 v[16:17], v[20:21], v[16:17] neg_lo:[0,1] neg_hi:[0,1]
	v_add_f32_e32 v20, v66, v43
	v_add_f32_e32 v51, v51, v53
	v_fmac_f32_e32 v59, 0x3eae86e6, v58
	v_add_f32_e32 v34, v34, v52
	v_add_f32_e32 v42, v42, v52
	v_add_f32_e32 v52, v60, v52
	v_fmac_f32_e32 v50, 0x3ee1c552, v37
	v_sub_f32_e32 v66, v51, v20
	v_pk_add_f32 v[48:49], v[54:55], v[48:49]
	v_mov_b32_e32 v21, v18
	v_pk_add_f32 v[6:7], v[6:7], v[44:45] neg_lo:[0,1] neg_hi:[0,1]
	s_mov_b32 s6, 0x3eae86e6
	v_fmac_f32_e32 v59, 0x3ee1c552, v37
	v_sub_f32_e32 v68, v52, v50
	v_add_f32_e32 v74, v50, v52
	v_mul_f32_e32 v15, 0x3f3bfb3b, v66
	v_pk_add_f32 v[52:53], v[48:49], v[20:21]
	v_mov_b32_e32 v44, v17
	v_mov_b32_e32 v45, v7
	;; [unrolled: 1-line block ×3, first 2 shown]
	s_mov_b32 s10, 0x3f4a47b2
	s_mov_b32 s7, 0xbf08b237
	v_fmac_f32_e32 v39, 0x3ee1c552, v37
	v_sub_f32_e32 v37, v34, v59
	v_add_f32_e32 v75, v59, v34
	v_sub_f32_e32 v34, v18, v19
	v_pk_add_f32 v[44:45], v[16:17], v[44:45] neg_lo:[0,1] neg_hi:[0,1]
	v_sub_f32_e32 v58, v7, v16
	v_pk_add_f32 v[54:55], v[14:15], v[18:19] neg_lo:[0,1] neg_hi:[0,1]
	v_pk_add_f32 v[52:53], v[52:53], v[18:19]
	v_mov_b32_e32 v21, v19
	s_mov_b32 s11, 0x3d64c772
	v_add_f32_e32 v69, v39, v42
	v_sub_f32_e32 v39, v42, v39
	v_mul_f32_e32 v42, 0xbf4a47b2, v34
	v_pk_add_f32 v[22:23], v[56:57], v[22:23] neg_lo:[0,1] neg_hi:[0,1]
	v_mov_b32_e32 v55, v53
	v_add_f32_e32 v43, v47, v53
	v_pk_mul_f32 v[56:57], v[44:45], s[6:7]
	v_mul_f32_e32 v14, 0x3f5ff5aa, v58
	v_pk_add_f32 v[18:19], v[20:21], v[48:49] neg_lo:[0,1] neg_hi:[0,1]
	v_add_f32_e32 v50, v51, v20
	v_pk_mul_f32 v[52:53], v[54:55], s[14:15]
	v_pk_mul_f32 v[20:21], v[18:19], s[10:11]
	v_pk_fma_f32 v[54:55], v[54:55], s[14:15], v[42:43] neg_lo:[1,0,0] neg_hi:[1,0,0]
	v_xor_b32_e32 v60, 0x80000000, v14
	v_mov_b32_e32 v61, v56
	v_fmamk_f32 v59, v34, 0x3f4a47b2, v21
	v_fma_f32 v21, v58, s13, -v57
	v_pk_fma_f32 v[56:57], v[44:45], s[6:7], v[60:61] neg_lo:[1,0,0] neg_hi:[1,0,0]
	v_pk_fma_f32 v[44:45], v[44:45], s[6:7], v[60:61]
	v_mov_b32_e32 v58, v55
	v_mov_b32_e32 v62, v23
	;; [unrolled: 1-line block ×4, first 2 shown]
	v_pk_add_f32 v[44:45], v[54:55], v[58:59]
	v_mov_b32_e32 v58, v23
	v_mov_b32_e32 v59, v17
	v_pk_add_f32 v[62:63], v[22:23], v[62:63] neg_lo:[0,1] neg_hi:[0,1]
	v_pk_add_f32 v[64:65], v[48:49], v[50:51] op_sel_hi:[0,1]
	v_pk_add_f32 v[48:49], v[48:49], v[50:51] op_sel_hi:[0,1] neg_lo:[0,1] neg_hi:[0,1]
	s_mov_b32 s14, s15
	s_mov_b32 s15, s11
	v_pk_add_f32 v[58:59], v[58:59], v[6:7]
	v_mov_b32_e32 v60, v22
	v_mov_b32_e32 v61, v16
	;; [unrolled: 1-line block ×3, first 2 shown]
	v_pk_mul_f32 v[48:49], v[48:49], s[14:15]
	v_pk_mul_f32 v[50:51], v[62:63], s[6:7]
	s_mov_b32 s12, 0x3ee1c552
	v_pk_add_f32 v[16:17], v[58:59], v[60:61]
	v_add_f32_e32 v14, v87, v64
	v_mov_b32_e32 v48, v49
	v_mov_b32_e32 v49, v52
	;; [unrolled: 1-line block ×3, first 2 shown]
	v_sub_f32_e32 v6, v6, v22
	v_pk_mul_f32 v[58:59], v[16:17], s[12:13] op_sel_hi:[1,0]
	v_pk_fma_f32 v[52:53], v[18:19], s[10:11], v[48:49] neg_lo:[1,0,0] neg_hi:[1,0,0]
	v_pk_fma_f32 v[18:19], v[18:19], s[10:11], v[48:49]
	v_pk_fma_f32 v[48:49], v[64:65], s[14:15], v[14:15] neg_lo:[1,0,0] neg_hi:[1,0,0]
	v_pk_fma_f32 v[50:51], v[62:63], s[6:7], v[34:35]
	v_mul_f32_e32 v6, 0x3f5ff5aa, v6
	v_pk_add_f32 v[56:57], v[58:59], v[56:57] op_sel:[1,0]
	v_mov_b32_e32 v19, v53
	v_mov_b32_e32 v54, v48
	;; [unrolled: 1-line block ×3, first 2 shown]
	v_fma_f32 v20, v66, s16, -v20
	v_pk_fma_f32 v[6:7], v[62:63], s[6:7], v[6:7] op_sel_hi:[1,1,0] neg_lo:[1,0,1] neg_hi:[1,0,0]
	v_mov_b32_e32 v21, v48
	v_pk_add_f32 v[60:61], v[44:45], v[56:57] neg_lo:[0,1] neg_hi:[0,1]
	v_pk_add_f32 v[52:53], v[18:19], v[54:55]
	v_pk_fma_f32 v[50:51], v[16:17], s[12:13], v[50:51] op_sel_hi:[1,0,1]
	v_pk_add_f32 v[16:17], v[56:57], v[44:45]
	v_pk_add_f32 v[22:23], v[48:49], v[20:21]
	v_pk_add_f32 v[44:45], v[58:59], v[6:7] op_sel_hi:[0,1]
	v_add_u32_e32 v15, 0x400, v72
	v_pk_add_f32 v[18:19], v[50:51], v[52:53]
	v_pk_add_f32 v[6:7], v[52:53], v[50:51] neg_lo:[0,1] neg_hi:[0,1]
	v_pk_add_f32 v[20:21], v[22:23], v[44:45] neg_lo:[0,1] neg_hi:[0,1]
	v_pk_add_f32 v[22:23], v[44:45], v[22:23]
	s_waitcnt lgkmcnt(0)
	; wave barrier
	s_waitcnt lgkmcnt(0)
	ds_write2_b32 v40, v67, v37 offset1:12
	ds_write2_b32 v40, v68, v69 offset0:24 offset1:36
	ds_write2_b32 v40, v39, v74 offset0:48 offset1:60
	ds_write_b32 v40, v75 offset:288
	ds_write2_b32 v41, v43, v61 offset1:12
	ds_write2_b32 v41, v60, v19 offset0:24 offset1:36
	ds_write2_b32 v41, v7, v16 offset0:48 offset1:60
	ds_write_b32 v41, v17 offset:288
	;; [unrolled: 4-line block ×3, first 2 shown]
	s_waitcnt lgkmcnt(0)
	; wave barrier
	s_waitcnt lgkmcnt(0)
	ds_read2_b32 v[40:41], v72 offset1:84
	ds_read2_b32 v[46:47], v72 offset0:168 offset1:252
	ds_read2_b32 v[44:45], v15 offset0:80 offset1:164
	v_add_u32_e32 v15, 0x600, v72
	ds_read2_b32 v[42:43], v15 offset0:120 offset1:204
	v_add_u32_e32 v15, 0x800, v72
	ds_read2_b32 v[48:49], v15 offset0:160 offset1:244
	ds_read_b32 v34, v72 offset:3360
	s_and_saveexec_b64 s[6:7], s[2:3]
	s_xor_b64 s[2:3], exec, s[6:7]
	s_cbranch_execnz .LBB0_35
; %bb.32:
	s_andn2_saveexec_b64 s[2:3], s[2:3]
	s_cbranch_execnz .LBB0_36
.LBB0_33:
	s_or_b64 exec, exec, s[2:3]
	s_and_saveexec_b64 s[2:3], vcc
	s_cbranch_execnz .LBB0_37
.LBB0_34:
	s_endpgm
.LBB0_35:
                                        ; implicit-def: $vgpr73
                                        ; implicit-def: $vgpr72
	s_andn2_saveexec_b64 s[2:3], s[2:3]
	s_cbranch_execz .LBB0_33
.LBB0_36:
	v_add_u32_e32 v6, 0x400, v72
	v_add_u32_e32 v14, 0x600, v72
	;; [unrolled: 1-line block ×3, first 2 shown]
	ds_read_b32 v7, v73
	ds_read2_b32 v[16:17], v72 offset0:128 offset1:212
	ds_read2_b32 v[36:37], v15 offset0:120 offset1:204
	;; [unrolled: 1-line block ×4, first 2 shown]
	v_add_u32_e32 v6, 0xc00, v72
	ds_read2_b32 v[18:19], v6 offset0:32 offset1:116
	s_waitcnt lgkmcnt(3)
	v_mov_b32_e32 v22, v37
	s_waitcnt lgkmcnt(2)
	v_mov_b32_e32 v23, v21
	;; [unrolled: 2-line block ×3, first 2 shown]
	v_mov_b32_e32 v21, v36
	s_waitcnt lgkmcnt(0)
	v_mov_b32_e32 v36, v19
	s_or_b64 exec, exec, s[2:3]
	s_and_saveexec_b64 s[2:3], vcc
	s_cbranch_execz .LBB0_34
.LBB0_37:
	v_mul_u32_u24_e32 v19, 10, v70
	v_lshlrev_b32_e32 v19, 3, v19
	v_mad_u64_u32 v[50:51], s[2:3], s8, v70, 0
	v_mov_b32_e32 v56, v51
	global_load_dwordx4 v[52:55], v19, s[4:5] offset:656
	v_mad_u64_u32 v[56:57], s[2:3], s9, v70, v[56:57]
	v_mov_b32_e32 v51, v56
	v_add_u32_e32 v37, 0x54, v70
	global_load_dwordx4 v[56:59], v19, s[4:5] offset:720
	v_mad_u64_u32 v[68:69], s[2:3], s8, v37, 0
	v_mov_b32_e32 v60, v69
	v_mad_u64_u32 v[60:61], s[2:3], s9, v37, v[60:61]
	v_add_u32_e32 v37, 0xa8, v70
	v_mad_u64_u32 v[76:77], s[2:3], s8, v37, 0
	v_mov_b32_e32 v64, v77
	v_mad_u64_u32 v[64:65], s[2:3], s9, v37, v[64:65]
	v_add_u32_e32 v37, 0xfc, v70
	v_mad_u64_u32 v[78:79], s[2:3], s8, v37, 0
	v_mov_b32_e32 v69, v60
	global_load_dwordx4 v[60:63], v19, s[4:5] offset:672
	v_mov_b32_e32 v77, v64
	v_mov_b32_e32 v64, v79
	v_mad_u64_u32 v[64:65], s[2:3], s9, v37, v[64:65]
	v_add_u32_e32 v37, 0x150, v70
	v_mov_b32_e32 v79, v64
	global_load_dwordx4 v[64:67], v19, s[4:5] offset:704
	v_mad_u64_u32 v[80:81], s[2:3], s8, v37, 0
	v_mov_b32_e32 v72, v81
	v_mad_u64_u32 v[72:73], s[2:3], s9, v37, v[72:73]
	v_add_u32_e32 v37, 0x1a4, v70
	v_mad_u64_u32 v[82:83], s[2:3], s8, v37, 0
	v_mov_b32_e32 v81, v72
	v_mov_b32_e32 v72, v83
	v_mad_u64_u32 v[72:73], s[2:3], s9, v37, v[72:73]
	v_mov_b32_e32 v83, v72
	global_load_dwordx4 v[72:75], v19, s[4:5] offset:688
	v_add_u32_e32 v37, 0x1f8, v70
	v_mad_u64_u32 v[84:85], s[2:3], s8, v37, 0
	v_mov_b32_e32 v86, v85
	v_mad_u64_u32 v[86:87], s[2:3], s9, v37, v[86:87]
	v_add_u32_e32 v19, 0x24c, v70
	v_mov_b32_e32 v85, v86
	v_mad_u64_u32 v[86:87], s[2:3], s8, v19, 0
	v_mov_b32_e32 v88, v87
	v_mad_u64_u32 v[88:89], s[2:3], s9, v19, v[88:89]
	v_add_u32_e32 v19, 0x2a0, v70
	v_mov_b32_e32 v87, v88
	;; [unrolled: 5-line block ×4, first 2 shown]
	v_mad_u64_u32 v[92:93], s[2:3], s8, v19, 0
	v_mov_b32_e32 v94, v93
	v_mad_u64_u32 v[94:95], s[2:3], s9, v19, v[94:95]
	s_waitcnt lgkmcnt(5)
	v_mov_b32_e32 v98, v41
	v_mov_b32_e32 v93, v94
	;; [unrolled: 1-line block ×4, first 2 shown]
	s_waitcnt vmcnt(4)
	v_pk_mul_f32 v[98:99], v[98:99], v[52:53] op_sel_hi:[0,1]
	v_pk_fma_f32 v[94:95], v[94:95], v[52:53], v[98:99] op_sel:[0,0,1] op_sel_hi:[1,1,0] neg_lo:[0,0,1] neg_hi:[0,0,1]
	v_pk_fma_f32 v[52:53], v[96:97], v[52:53], v[98:99] op_sel:[0,0,1] op_sel_hi:[0,1,0]
	v_mov_b32_e32 v95, v53
	s_waitcnt vmcnt(3) lgkmcnt(0)
	v_pk_mul_f32 v[52:53], v[34:35], v[58:59] op_sel_hi:[0,1]
	v_pk_fma_f32 v[96:97], v[38:39], v[58:59], v[52:53] op_sel:[0,0,1] op_sel_hi:[1,1,0] neg_lo:[0,0,1] neg_hi:[0,0,1]
	v_pk_fma_f32 v[38:39], v[38:39], v[58:59], v[52:53] op_sel:[0,0,1] op_sel_hi:[0,1,0]
	v_mov_b32_e32 v97, v39
	v_pk_mul_f32 v[38:39], v[46:47], v[54:55] op_sel_hi:[0,1]
	v_pk_fma_f32 v[52:53], v[30:31], v[54:55], v[38:39] op_sel:[0,0,1] op_sel_hi:[1,1,0] neg_lo:[0,0,1] neg_hi:[0,0,1]
	v_pk_fma_f32 v[38:39], v[30:31], v[54:55], v[38:39] op_sel:[0,0,1] op_sel_hi:[0,1,0]
	v_mov_b32_e32 v38, v49
	v_mov_b32_e32 v53, v39
	;; [unrolled: 1-line block ×4, first 2 shown]
	v_pk_mul_f32 v[38:39], v[38:39], v[56:57] op_sel_hi:[0,1]
	v_pk_fma_f32 v[54:55], v[30:31], v[56:57], v[38:39] op_sel:[0,0,1] op_sel_hi:[1,1,0] neg_lo:[0,0,1] neg_hi:[0,0,1]
	v_pk_fma_f32 v[38:39], v[34:35], v[56:57], v[38:39] op_sel:[0,0,1] op_sel_hi:[0,1,0]
	v_mov_b32_e32 v38, v47
	v_mov_b32_e32 v55, v39
	;; [unrolled: 1-line block ×4, first 2 shown]
	s_waitcnt vmcnt(2)
	v_pk_mul_f32 v[38:39], v[38:39], v[60:61] op_sel_hi:[0,1]
	v_pk_fma_f32 v[30:31], v[30:31], v[60:61], v[38:39] op_sel:[0,0,1] op_sel_hi:[1,1,0] neg_lo:[0,0,1] neg_hi:[0,0,1]
	v_pk_fma_f32 v[38:39], v[34:35], v[60:61], v[38:39] op_sel:[0,0,1] op_sel_hi:[0,1,0]
	v_mov_b32_e32 v31, v39
	v_mov_b32_e32 v34, v43
	s_waitcnt vmcnt(1)
	v_pk_mul_f32 v[38:39], v[48:49], v[66:67] op_sel_hi:[0,1]
	v_pk_fma_f32 v[46:47], v[28:29], v[66:67], v[38:39] op_sel:[0,0,1] op_sel_hi:[1,1,0] neg_lo:[0,0,1] neg_hi:[0,0,1]
	v_pk_fma_f32 v[28:29], v[28:29], v[66:67], v[38:39] op_sel:[0,0,1] op_sel_hi:[0,1,0]
	v_mov_b32_e32 v47, v29
	v_pk_mul_f32 v[28:29], v[44:45], v[62:63] op_sel_hi:[0,1]
	v_pk_fma_f32 v[38:39], v[26:27], v[62:63], v[28:29] op_sel:[0,0,1] op_sel_hi:[1,1,0] neg_lo:[0,0,1] neg_hi:[0,0,1]
	v_pk_fma_f32 v[28:29], v[26:27], v[62:63], v[28:29] op_sel:[0,0,1] op_sel_hi:[0,1,0]
	v_mov_b32_e32 v28, v25
	v_pk_mul_f32 v[48:49], v[34:35], v[64:65] op_sel_hi:[0,1]
	v_mov_b32_e32 v39, v29
	v_mov_b32_e32 v26, v25
	v_pk_fma_f32 v[28:29], v[28:29], v[64:65], v[48:49] op_sel:[0,0,1] op_sel_hi:[0,1,0]
	v_mov_b32_e32 v34, v45
	v_pk_fma_f32 v[56:57], v[26:27], v[64:65], v[48:49] op_sel:[0,0,1] op_sel_hi:[1,1,0] neg_lo:[0,0,1] neg_hi:[0,0,1]
	v_mov_b32_e32 v26, v27
	v_mov_b32_e32 v28, v27
	s_waitcnt vmcnt(0)
	v_pk_mul_f32 v[44:45], v[34:35], v[72:73] op_sel_hi:[0,1]
	v_mov_b32_e32 v57, v29
	v_pk_fma_f32 v[26:27], v[26:27], v[72:73], v[44:45] op_sel:[0,0,1] op_sel_hi:[1,1,0] neg_lo:[0,0,1] neg_hi:[0,0,1]
	v_pk_fma_f32 v[28:29], v[28:29], v[72:73], v[44:45] op_sel:[0,0,1] op_sel_hi:[0,1,0]
	v_mov_b32_e32 v27, v29
	v_pk_mul_f32 v[28:29], v[42:43], v[74:75] op_sel_hi:[0,1]
	v_pk_fma_f32 v[42:43], v[24:25], v[74:75], v[28:29] op_sel:[0,0,1] op_sel_hi:[1,1,0] neg_lo:[0,0,1] neg_hi:[0,0,1]
	v_pk_fma_f32 v[24:25], v[24:25], v[74:75], v[28:29] op_sel:[0,0,1] op_sel_hi:[0,1,0]
	v_pk_add_f32 v[28:29], v[94:95], v[96:97] neg_lo:[0,1] neg_hi:[0,1]
	s_mov_b32 s18, 0xbf0a6770
	v_mov_b32_e32 v43, v25
	v_pk_add_f32 v[24:25], v[96:97], v[94:95]
	s_mov_b32 s6, 0x3f575c64
	v_pk_mul_f32 v[44:45], v[28:29], s[18:19] op_sel:[1,0] op_sel_hi:[0,0]
	v_pk_fma_f32 v[48:49], v[24:25], s[6:7], v[44:45] op_sel_hi:[1,0,1]
	v_pk_fma_f32 v[44:45], v[24:25], s[6:7], v[44:45] op_sel_hi:[1,0,1] neg_lo:[0,0,1] neg_hi:[0,0,1]
	v_mov_b32_e32 v58, v48
	v_mov_b32_e32 v59, v45
	;; [unrolled: 1-line block ×3, first 2 shown]
	v_pk_add_f32 v[60:61], v[52:53], v[54:55] neg_lo:[0,1] neg_hi:[0,1]
	s_mov_b32 s28, 0xbf68dda4
	v_pk_add_f32 v[40:41], v[12:13], v[58:59]
	v_pk_add_f32 v[58:59], v[54:55], v[52:53]
	s_mov_b32 s10, 0x3ed4b147
	v_pk_mul_f32 v[62:63], v[60:61], s[28:29] op_sel:[1,0] op_sel_hi:[0,0]
	v_pk_fma_f32 v[64:65], v[58:59], s[10:11], v[62:63] op_sel_hi:[1,0,1]
	v_pk_fma_f32 v[62:63], v[58:59], s[10:11], v[62:63] op_sel_hi:[1,0,1] neg_lo:[0,0,1] neg_hi:[0,0,1]
	v_mov_b32_e32 v66, v64
	v_mov_b32_e32 v67, v63
	v_pk_add_f32 v[72:73], v[30:31], v[46:47] neg_lo:[0,1] neg_hi:[0,1]
	s_mov_b32 s12, 0xbf7d64f0
	v_pk_add_f32 v[40:41], v[40:41], v[66:67]
	v_pk_add_f32 v[66:67], v[46:47], v[30:31]
	s_mov_b32 s2, 0xbe11bafb
	v_pk_mul_f32 v[74:75], v[72:73], s[12:13] op_sel:[1,0] op_sel_hi:[0,0]
	v_pk_fma_f32 v[98:99], v[66:67], s[2:3], v[74:75] op_sel_hi:[1,0,1]
	v_pk_fma_f32 v[74:75], v[66:67], s[2:3], v[74:75] op_sel_hi:[1,0,1] neg_lo:[0,0,1] neg_hi:[0,0,1]
	v_mov_b32_e32 v100, v98
	v_mov_b32_e32 v101, v75
	v_pk_add_f32 v[102:103], v[38:39], v[56:57] neg_lo:[0,1] neg_hi:[0,1]
	s_mov_b32 s16, 0xbf4178ce
	v_pk_add_f32 v[94:95], v[12:13], v[94:95]
	v_pk_add_f32 v[40:41], v[40:41], v[100:101]
	;; [unrolled: 1-line block ×3, first 2 shown]
	s_mov_b32 s14, 0xbf27a4f4
	v_pk_mul_f32 v[104:105], v[102:103], s[16:17] op_sel:[1,0] op_sel_hi:[0,0]
	v_pk_add_f32 v[52:53], v[94:95], v[52:53]
	v_pk_fma_f32 v[106:107], v[100:101], s[14:15], v[104:105] op_sel_hi:[1,0,1]
	v_pk_fma_f32 v[104:105], v[100:101], s[14:15], v[104:105] op_sel_hi:[1,0,1] neg_lo:[0,0,1] neg_hi:[0,0,1]
	v_pk_add_f32 v[30:31], v[52:53], v[30:31]
	v_mov_b32_e32 v108, v106
	v_mov_b32_e32 v109, v105
	v_pk_add_f32 v[30:31], v[30:31], v[38:39]
	v_pk_add_f32 v[40:41], v[40:41], v[108:109]
	;; [unrolled: 1-line block ×3, first 2 shown]
	v_pk_add_f32 v[110:111], v[26:27], v[42:43] neg_lo:[0,1] neg_hi:[0,1]
	v_pk_add_f32 v[26:27], v[30:31], v[26:27]
	v_lshl_add_u64 v[50:51], v[50:51], 3, v[32:33]
	v_pk_add_f32 v[26:27], v[42:43], v[26:27]
	v_mov_b32_e32 v45, v49
	v_pk_add_f32 v[26:27], v[56:57], v[26:27]
	s_mov_b32 s22, 0xbe903f40
	v_pk_add_f32 v[26:27], v[46:47], v[26:27]
	v_mov_b32_e32 v63, v65
	v_pk_add_f32 v[26:27], v[54:55], v[26:27]
	s_mov_b32 s20, 0xbf75a155
	v_pk_add_f32 v[26:27], v[96:97], v[26:27]
	global_store_dwordx2 v[50:51], v[26:27], off
	v_pk_add_f32 v[26:27], v[12:13], v[44:45]
	v_pk_mul_f32 v[112:113], v[110:111], s[22:23] op_sel:[1,0] op_sel_hi:[0,0]
	v_pk_add_f32 v[26:27], v[26:27], v[62:63]
	v_mov_b32_e32 v75, v99
	v_pk_fma_f32 v[114:115], v[108:109], s[20:21], v[112:113] op_sel_hi:[1,0,1]
	v_pk_fma_f32 v[112:113], v[108:109], s[20:21], v[112:113] op_sel_hi:[1,0,1] neg_lo:[0,0,1] neg_hi:[0,0,1]
	v_pk_add_f32 v[26:27], v[26:27], v[74:75]
	v_mov_b32_e32 v105, v107
	v_mov_b32_e32 v117, v113
	v_pk_add_f32 v[26:27], v[26:27], v[104:105]
	v_mov_b32_e32 v113, v115
	v_lshl_add_u64 v[52:53], v[68:69], 3, v[32:33]
	v_pk_add_f32 v[26:27], v[26:27], v[112:113]
	global_store_dwordx2 v[52:53], v[26:27], off
	v_pk_mul_f32 v[26:27], v[28:29], s[28:29] op_sel:[1,0] op_sel_hi:[0,0]
	v_pk_fma_f32 v[30:31], v[24:25], s[10:11], v[26:27] op_sel_hi:[1,0,1]
	v_pk_fma_f32 v[26:27], v[24:25], s[10:11], v[26:27] op_sel_hi:[1,0,1] neg_lo:[0,0,1] neg_hi:[0,0,1]
	v_pk_mul_f32 v[42:43], v[60:61], s[16:17] op_sel:[1,0] op_sel_hi:[0,0]
	v_mov_b32_e32 v38, v30
	v_mov_b32_e32 v39, v27
	v_pk_fma_f32 v[44:45], v[58:59], s[14:15], v[42:43] op_sel_hi:[1,0,1]
	v_pk_fma_f32 v[42:43], v[58:59], s[14:15], v[42:43] op_sel_hi:[1,0,1] neg_lo:[0,0,1] neg_hi:[0,0,1]
	v_pk_add_f32 v[38:39], v[12:13], v[38:39]
	v_mov_b32_e32 v46, v44
	v_mov_b32_e32 v47, v43
	s_mov_b32 s34, 0x3e903f40
	v_pk_add_f32 v[38:39], v[38:39], v[46:47]
	v_pk_mul_f32 v[46:47], v[72:73], s[34:35] op_sel:[1,0] op_sel_hi:[0,0]
	v_pk_fma_f32 v[48:49], v[66:67], s[20:21], v[46:47] op_sel_hi:[1,0,1]
	v_pk_fma_f32 v[46:47], v[66:67], s[20:21], v[46:47] op_sel_hi:[1,0,1] neg_lo:[0,0,1] neg_hi:[0,0,1]
	v_mov_b32_e32 v50, v48
	v_mov_b32_e32 v51, v47
	s_mov_b32 s30, 0x3f7d64f0
	v_pk_add_f32 v[38:39], v[38:39], v[50:51]
	v_pk_mul_f32 v[50:51], v[102:103], s[30:31] op_sel:[1,0] op_sel_hi:[0,0]
	v_pk_fma_f32 v[52:53], v[100:101], s[2:3], v[50:51] op_sel_hi:[1,0,1]
	v_pk_fma_f32 v[50:51], v[100:101], s[2:3], v[50:51] op_sel_hi:[1,0,1] neg_lo:[0,0,1] neg_hi:[0,0,1]
	v_mov_b32_e32 v27, v31
	v_mov_b32_e32 v54, v52
	;; [unrolled: 1-line block ×3, first 2 shown]
	s_mov_b32 s24, 0x3f0a6770
	v_pk_add_f32 v[26:27], v[12:13], v[26:27]
	v_mov_b32_e32 v43, v45
	v_pk_add_f32 v[38:39], v[38:39], v[54:55]
	v_pk_mul_f32 v[54:55], v[110:111], s[24:25] op_sel:[1,0] op_sel_hi:[0,0]
	v_pk_add_f32 v[26:27], v[26:27], v[42:43]
	v_mov_b32_e32 v47, v49
	v_pk_fma_f32 v[56:57], v[108:109], s[6:7], v[54:55] op_sel_hi:[1,0,1]
	v_pk_fma_f32 v[54:55], v[108:109], s[6:7], v[54:55] op_sel_hi:[1,0,1] neg_lo:[0,0,1] neg_hi:[0,0,1]
	v_pk_add_f32 v[26:27], v[26:27], v[46:47]
	v_mov_b32_e32 v51, v53
	v_mov_b32_e32 v63, v55
	v_pk_add_f32 v[26:27], v[26:27], v[50:51]
	v_mov_b32_e32 v55, v57
	v_lshl_add_u64 v[68:69], v[76:77], 3, v[32:33]
	v_pk_add_f32 v[26:27], v[26:27], v[54:55]
	global_store_dwordx2 v[68:69], v[26:27], off
	v_pk_mul_f32 v[26:27], v[28:29], s[12:13] op_sel:[1,0] op_sel_hi:[0,0]
	v_pk_fma_f32 v[30:31], v[24:25], s[2:3], v[26:27] op_sel_hi:[1,0,1]
	v_pk_fma_f32 v[26:27], v[24:25], s[2:3], v[26:27] op_sel_hi:[1,0,1] neg_lo:[0,0,1] neg_hi:[0,0,1]
	v_pk_mul_f32 v[44:45], v[60:61], s[34:35] op_sel:[1,0] op_sel_hi:[0,0]
	v_mov_b32_e32 v42, v30
	v_mov_b32_e32 v43, v27
	v_pk_fma_f32 v[46:47], v[58:59], s[20:21], v[44:45] op_sel_hi:[1,0,1]
	v_pk_fma_f32 v[44:45], v[58:59], s[20:21], v[44:45] op_sel_hi:[1,0,1] neg_lo:[0,0,1] neg_hi:[0,0,1]
	v_pk_add_f32 v[42:43], v[12:13], v[42:43]
	v_mov_b32_e32 v48, v46
	v_mov_b32_e32 v49, v45
	s_mov_b32 s26, 0x3f68dda4
	v_pk_add_f32 v[42:43], v[42:43], v[48:49]
	v_pk_mul_f32 v[48:49], v[72:73], s[26:27] op_sel:[1,0] op_sel_hi:[0,0]
	v_pk_fma_f32 v[50:51], v[66:67], s[10:11], v[48:49] op_sel_hi:[1,0,1]
	v_pk_fma_f32 v[48:49], v[66:67], s[10:11], v[48:49] op_sel_hi:[1,0,1] neg_lo:[0,0,1] neg_hi:[0,0,1]
	v_mov_b32_e32 v52, v50
	v_mov_b32_e32 v53, v49
	v_pk_add_f32 v[42:43], v[42:43], v[52:53]
	v_pk_mul_f32 v[52:53], v[102:103], s[18:19] op_sel:[1,0] op_sel_hi:[0,0]
	v_pk_fma_f32 v[54:55], v[100:101], s[6:7], v[52:53] op_sel_hi:[1,0,1]
	v_pk_fma_f32 v[52:53], v[100:101], s[6:7], v[52:53] op_sel_hi:[1,0,1] neg_lo:[0,0,1] neg_hi:[0,0,1]
	v_mov_b32_e32 v27, v31
	v_mov_b32_e32 v62, v56
	;; [unrolled: 1-line block ×4, first 2 shown]
	v_pk_add_f32 v[26:27], v[12:13], v[26:27]
	v_mov_b32_e32 v45, v47
	v_pk_add_f32 v[42:43], v[42:43], v[56:57]
	v_pk_mul_f32 v[56:57], v[110:111], s[16:17] op_sel:[1,0] op_sel_hi:[0,0]
	v_pk_add_f32 v[26:27], v[26:27], v[44:45]
	v_mov_b32_e32 v49, v51
	v_pk_add_f32 v[38:39], v[38:39], v[62:63]
	v_pk_fma_f32 v[62:63], v[108:109], s[14:15], v[56:57] op_sel_hi:[1,0,1]
	v_pk_fma_f32 v[56:57], v[108:109], s[14:15], v[56:57] op_sel_hi:[1,0,1] neg_lo:[0,0,1] neg_hi:[0,0,1]
	v_pk_add_f32 v[26:27], v[26:27], v[48:49]
	v_mov_b32_e32 v53, v55
	v_mov_b32_e32 v65, v57
	v_pk_add_f32 v[26:27], v[26:27], v[52:53]
	v_mov_b32_e32 v57, v63
	v_lshl_add_u64 v[76:77], v[78:79], 3, v[32:33]
	v_pk_add_f32 v[26:27], v[26:27], v[56:57]
	global_store_dwordx2 v[76:77], v[26:27], off
	v_pk_mul_f32 v[26:27], v[28:29], s[16:17] op_sel:[1,0] op_sel_hi:[0,0]
	v_pk_fma_f32 v[30:31], v[24:25], s[14:15], v[26:27] op_sel_hi:[1,0,1]
	v_pk_fma_f32 v[26:27], v[24:25], s[14:15], v[26:27] op_sel_hi:[1,0,1] neg_lo:[0,0,1] neg_hi:[0,0,1]
	v_pk_mul_f32 v[46:47], v[60:61], s[30:31] op_sel:[1,0] op_sel_hi:[0,0]
	v_mov_b32_e32 v44, v30
	v_mov_b32_e32 v45, v27
	v_pk_fma_f32 v[48:49], v[58:59], s[2:3], v[46:47] op_sel_hi:[1,0,1]
	v_pk_fma_f32 v[46:47], v[58:59], s[2:3], v[46:47] op_sel_hi:[1,0,1] neg_lo:[0,0,1] neg_hi:[0,0,1]
	v_pk_add_f32 v[44:45], v[12:13], v[44:45]
	v_mov_b32_e32 v50, v48
	v_mov_b32_e32 v51, v47
	v_pk_add_f32 v[44:45], v[44:45], v[50:51]
	v_pk_mul_f32 v[50:51], v[72:73], s[18:19] op_sel:[1,0] op_sel_hi:[0,0]
	v_pk_fma_f32 v[52:53], v[66:67], s[6:7], v[50:51] op_sel_hi:[1,0,1]
	v_pk_fma_f32 v[50:51], v[66:67], s[6:7], v[50:51] op_sel_hi:[1,0,1] neg_lo:[0,0,1] neg_hi:[0,0,1]
	v_mov_b32_e32 v54, v52
	v_mov_b32_e32 v55, v51
	v_pk_add_f32 v[44:45], v[44:45], v[54:55]
	v_pk_mul_f32 v[54:55], v[102:103], s[22:23] op_sel:[1,0] op_sel_hi:[0,0]
	v_pk_fma_f32 v[56:57], v[100:101], s[20:21], v[54:55] op_sel_hi:[1,0,1]
	v_pk_fma_f32 v[54:55], v[100:101], s[20:21], v[54:55] op_sel_hi:[1,0,1] neg_lo:[0,0,1] neg_hi:[0,0,1]
	v_mov_b32_e32 v27, v31
	v_mov_b32_e32 v64, v62
	;; [unrolled: 1-line block ×4, first 2 shown]
	v_pk_add_f32 v[26:27], v[12:13], v[26:27]
	v_mov_b32_e32 v47, v49
	v_pk_add_f32 v[44:45], v[44:45], v[62:63]
	v_pk_mul_f32 v[62:63], v[110:111], s[26:27] op_sel:[1,0] op_sel_hi:[0,0]
	v_pk_add_f32 v[26:27], v[26:27], v[46:47]
	v_mov_b32_e32 v51, v53
	v_pk_add_f32 v[42:43], v[42:43], v[64:65]
	v_pk_fma_f32 v[64:65], v[108:109], s[10:11], v[62:63] op_sel_hi:[1,0,1]
	v_pk_fma_f32 v[62:63], v[108:109], s[10:11], v[62:63] op_sel_hi:[1,0,1] neg_lo:[0,0,1] neg_hi:[0,0,1]
	v_pk_add_f32 v[26:27], v[26:27], v[50:51]
	v_mov_b32_e32 v55, v57
	v_mov_b32_e32 v69, v63
	v_pk_add_f32 v[26:27], v[26:27], v[54:55]
	v_mov_b32_e32 v63, v65
	v_lshl_add_u64 v[78:79], v[80:81], 3, v[32:33]
	v_pk_add_f32 v[26:27], v[26:27], v[62:63]
	global_store_dwordx2 v[78:79], v[26:27], off
	v_pk_mul_f32 v[26:27], v[28:29], s[22:23] op_sel:[1,0] op_sel_hi:[0,0]
	v_pk_fma_f32 v[28:29], v[24:25], s[20:21], v[26:27] op_sel_hi:[1,0,1]
	v_pk_fma_f32 v[24:25], v[24:25], s[20:21], v[26:27] op_sel_hi:[1,0,1] neg_lo:[0,0,1] neg_hi:[0,0,1]
	v_pk_mul_f32 v[30:31], v[60:61], s[24:25] op_sel:[1,0] op_sel_hi:[0,0]
	v_mov_b32_e32 v26, v28
	v_mov_b32_e32 v27, v25
	v_pk_fma_f32 v[46:47], v[58:59], s[6:7], v[30:31] op_sel_hi:[1,0,1]
	v_pk_fma_f32 v[30:31], v[58:59], s[6:7], v[30:31] op_sel_hi:[1,0,1] neg_lo:[0,0,1] neg_hi:[0,0,1]
	v_pk_add_f32 v[26:27], v[12:13], v[26:27]
	v_mov_b32_e32 v48, v46
	v_mov_b32_e32 v49, v31
	v_pk_add_f32 v[26:27], v[26:27], v[48:49]
	v_pk_mul_f32 v[48:49], v[72:73], s[16:17] op_sel:[1,0] op_sel_hi:[0,0]
	v_pk_fma_f32 v[50:51], v[66:67], s[14:15], v[48:49] op_sel_hi:[1,0,1]
	v_pk_fma_f32 v[48:49], v[66:67], s[14:15], v[48:49] op_sel_hi:[1,0,1] neg_lo:[0,0,1] neg_hi:[0,0,1]
	v_mov_b32_e32 v52, v50
	v_mov_b32_e32 v53, v49
	v_pk_add_f32 v[26:27], v[26:27], v[52:53]
	v_pk_mul_f32 v[52:53], v[102:103], s[26:27] op_sel:[1,0] op_sel_hi:[0,0]
	v_pk_fma_f32 v[54:55], v[100:101], s[10:11], v[52:53] op_sel_hi:[1,0,1]
	v_pk_fma_f32 v[52:53], v[100:101], s[10:11], v[52:53] op_sel_hi:[1,0,1] neg_lo:[0,0,1] neg_hi:[0,0,1]
	v_mov_b32_e32 v25, v29
	v_mov_b32_e32 v56, v54
	;; [unrolled: 1-line block ×3, first 2 shown]
	v_pk_add_f32 v[12:13], v[12:13], v[24:25]
	v_mov_b32_e32 v31, v47
	v_pk_add_f32 v[26:27], v[26:27], v[56:57]
	v_pk_mul_f32 v[56:57], v[110:111], s[12:13] op_sel:[1,0] op_sel_hi:[0,0]
	v_pk_add_f32 v[12:13], v[12:13], v[30:31]
	v_mov_b32_e32 v49, v51
	v_pk_fma_f32 v[58:59], v[108:109], s[2:3], v[56:57] op_sel_hi:[1,0,1]
	v_pk_fma_f32 v[56:57], v[108:109], s[2:3], v[56:57] op_sel_hi:[1,0,1] neg_lo:[0,0,1] neg_hi:[0,0,1]
	v_pk_add_f32 v[12:13], v[12:13], v[48:49]
	v_mov_b32_e32 v53, v55
	v_mov_b32_e32 v61, v57
	v_pk_add_f32 v[12:13], v[12:13], v[52:53]
	v_mov_b32_e32 v57, v59
	v_mov_b32_e32 v116, v114
	v_lshl_add_u64 v[80:81], v[82:83], 3, v[32:33]
	v_mov_b32_e32 v68, v64
	v_mov_b32_e32 v60, v58
	v_pk_add_f32 v[12:13], v[12:13], v[56:57]
	v_pk_add_f32 v[40:41], v[40:41], v[116:117]
	v_lshl_add_u64 v[82:83], v[84:85], 3, v[32:33]
	v_lshl_add_u64 v[84:85], v[86:87], 3, v[32:33]
	;; [unrolled: 1-line block ×5, first 2 shown]
	v_pk_add_f32 v[44:45], v[44:45], v[68:69]
	v_pk_add_f32 v[26:27], v[26:27], v[60:61]
	global_store_dwordx2 v[80:81], v[12:13], off
	global_store_dwordx2 v[82:83], v[26:27], off
	;; [unrolled: 1-line block ×6, first 2 shown]
	s_and_b64 exec, exec, s[0:1]
	s_cbranch_execz .LBB0_34
; %bb.38:
	v_subrev_u32_e32 v12, 40, v70
	v_cndmask_b32_e64 v12, v12, v71, s[0:1]
	v_mul_i32_i24_e32 v12, 10, v12
	v_mov_b32_e32 v13, 0
	v_lshl_add_u64 v[12:13], v[12:13], 3, s[4:5]
	global_load_dwordx4 v[24:27], v[12:13], off offset:656
	global_load_dwordx4 v[28:31], v[12:13], off offset:672
	;; [unrolled: 1-line block ×5, first 2 shown]
	v_mov_b32_e32 v12, v35
	v_mov_b32_e32 v34, v35
	s_waitcnt vmcnt(4)
	v_pk_mul_f32 v[50:51], v[16:17], v[24:25] op_sel_hi:[0,1]
	v_pk_mul_f32 v[16:17], v[16:17], v[26:27] op_sel:[1,0]
	s_waitcnt vmcnt(3)
	v_pk_mul_f32 v[14:15], v[14:15], v[28:29] op_sel_hi:[0,1]
	v_pk_fma_f32 v[58:59], v[4:5], v[24:25], v[50:51] op_sel:[1,0,1] op_sel_hi:[1,1,0] neg_lo:[0,0,1] neg_hi:[0,0,1]
	v_pk_fma_f32 v[24:25], v[4:5], v[24:25], v[50:51] op_sel:[1,0,1] op_sel_hi:[1,1,0]
	v_pk_mul_f32 v[52:53], v[6:7], v[30:31] op_sel_hi:[0,1]
	v_mov_b32_e32 v6, v1
	v_pk_fma_f32 v[50:51], v[10:11], v[26:27], v[16:17] op_sel:[0,0,1] op_sel_hi:[1,1,0] neg_lo:[0,0,1] neg_hi:[0,0,1]
	v_pk_fma_f32 v[16:17], v[10:11], v[26:27], v[16:17] op_sel:[0,0,1] op_sel_hi:[0,1,0]
	v_pk_fma_f32 v[26:27], v[0:1], v[28:29], v[14:15] op_sel:[0,0,1] op_sel_hi:[1,1,0] neg_lo:[0,0,1] neg_hi:[0,0,1]
	v_pk_fma_f32 v[0:1], v[0:1], v[28:29], v[14:15] op_sel:[0,0,1] op_sel_hi:[0,1,0]
	v_mov_b32_e32 v59, v25
	v_mov_b32_e32 v51, v17
	;; [unrolled: 1-line block ×3, first 2 shown]
	v_pk_add_f32 v[0:1], v[6:7], v[58:59]
	s_waitcnt vmcnt(2)
	v_pk_mul_f32 v[54:55], v[20:21], v[38:39] op_sel_hi:[0,1]
	v_pk_mul_f32 v[56:57], v[22:23], v[40:41] op_sel:[1,0]
	s_waitcnt vmcnt(1)
	v_pk_mul_f32 v[20:21], v[20:21], v[42:43] op_sel:[1,0]
	v_pk_mul_f32 v[22:23], v[22:23], v[44:45] op_sel_hi:[0,1]
	s_waitcnt vmcnt(0)
	v_pk_mul_f32 v[18:19], v[18:19], v[46:47] op_sel_hi:[0,1]
	v_pk_mul_f32 v[36:37], v[36:37], v[48:49] op_sel_hi:[0,1]
	v_pk_fma_f32 v[14:15], v[8:9], v[30:31], v[52:53] op_sel:[0,0,1] op_sel_hi:[1,1,0] neg_lo:[0,0,1] neg_hi:[0,0,1]
	v_pk_fma_f32 v[28:29], v[8:9], v[30:31], v[52:53] op_sel:[0,0,1] op_sel_hi:[0,1,0]
	v_pk_add_f32 v[0:1], v[0:1], v[50:51]
	v_pk_fma_f32 v[30:31], v[8:9], v[38:39], v[54:55] op_sel:[1,0,1] op_sel_hi:[1,1,0] neg_lo:[0,0,1] neg_hi:[0,0,1]
	v_pk_fma_f32 v[8:9], v[8:9], v[38:39], v[54:55] op_sel:[1,0,1] op_sel_hi:[1,1,0]
	v_pk_fma_f32 v[38:39], v[2:3], v[40:41], v[56:57] op_sel:[1,0,1] op_sel_hi:[1,1,0] neg_lo:[0,0,1] neg_hi:[0,0,1]
	v_pk_fma_f32 v[40:41], v[2:3], v[40:41], v[56:57] op_sel:[1,0,1] op_sel_hi:[1,1,0]
	;; [unrolled: 2-line block ×6, first 2 shown]
	v_mov_b32_e32 v15, v29
	v_pk_add_f32 v[0:1], v[0:1], v[26:27]
	v_mov_b32_e32 v31, v9
	v_mov_b32_e32 v13, v19
	v_pk_add_f32 v[0:1], v[0:1], v[14:15]
	v_mov_b32_e32 v39, v41
	v_mov_b32_e32 v53, v5
	;; [unrolled: 1-line block ×3, first 2 shown]
	v_pk_add_f32 v[4:5], v[58:59], v[12:13] neg_lo:[0,1] neg_hi:[0,1]
	v_pk_add_f32 v[0:1], v[0:1], v[30:31]
	v_mov_b32_e32 v21, v3
	v_pk_add_f32 v[2:3], v[58:59], v[12:13]
	v_pk_add_f32 v[10:11], v[50:51], v[22:23] neg_lo:[0,1] neg_hi:[0,1]
	v_pk_mul_f32 v[40:41], v[4:5], s[18:19] op_sel:[1,0] op_sel_hi:[0,0]
	v_pk_add_f32 v[0:1], v[0:1], v[38:39]
	v_pk_add_f32 v[8:9], v[50:51], v[22:23]
	v_pk_add_f32 v[16:17], v[26:27], v[20:21]
	v_pk_add_f32 v[18:19], v[26:27], v[20:21] neg_lo:[0,1] neg_hi:[0,1]
	v_pk_mul_f32 v[42:43], v[10:11], s[28:29] op_sel:[1,0] op_sel_hi:[0,0]
	v_pk_fma_f32 v[26:27], v[2:3], s[6:7], v[40:41] op_sel_hi:[1,0,1]
	v_pk_fma_f32 v[40:41], v[2:3], s[6:7], v[40:41] op_sel_hi:[1,0,1] neg_lo:[0,0,1] neg_hi:[0,0,1]
	v_pk_add_f32 v[0:1], v[0:1], v[52:53]
	v_pk_add_f32 v[24:25], v[14:15], v[52:53]
	v_pk_add_f32 v[28:29], v[14:15], v[52:53] neg_lo:[0,1] neg_hi:[0,1]
	v_pk_mul_f32 v[44:45], v[18:19], s[12:13] op_sel:[1,0] op_sel_hi:[0,0]
	v_pk_fma_f32 v[48:49], v[8:9], s[10:11], v[42:43] op_sel_hi:[1,0,1]
	v_pk_fma_f32 v[42:43], v[8:9], s[10:11], v[42:43] op_sel_hi:[1,0,1] neg_lo:[0,0,1] neg_hi:[0,0,1]
	v_mov_b32_e32 v14, v26
	v_mov_b32_e32 v15, v41
	v_pk_add_f32 v[0:1], v[0:1], v[20:21]
	v_pk_add_f32 v[36:37], v[30:31], v[38:39] neg_lo:[0,1] neg_hi:[0,1]
	v_pk_mul_f32 v[46:47], v[28:29], s[16:17] op_sel:[1,0] op_sel_hi:[0,0]
	v_pk_fma_f32 v[50:51], v[16:17], s[2:3], v[44:45] op_sel_hi:[1,0,1]
	v_pk_fma_f32 v[44:45], v[16:17], s[2:3], v[44:45] op_sel_hi:[1,0,1] neg_lo:[0,0,1] neg_hi:[0,0,1]
	v_mov_b32_e32 v56, v48
	v_mov_b32_e32 v57, v43
	v_pk_add_f32 v[14:15], v[6:7], v[14:15]
	v_pk_add_f32 v[0:1], v[0:1], v[22:23]
	;; [unrolled: 1-line block ×3, first 2 shown]
	v_pk_fma_f32 v[54:55], v[24:25], s[14:15], v[46:47] op_sel_hi:[1,0,1]
	v_pk_fma_f32 v[46:47], v[24:25], s[14:15], v[46:47] op_sel_hi:[1,0,1] neg_lo:[0,0,1] neg_hi:[0,0,1]
	v_mov_b32_e32 v58, v50
	v_mov_b32_e32 v59, v45
	v_pk_add_f32 v[14:15], v[56:57], v[14:15]
	v_pk_add_f32 v[12:13], v[0:1], v[12:13]
	v_pk_mul_f32 v[0:1], v[36:37], s[22:23] op_sel:[1,0] op_sel_hi:[0,0]
	v_mov_b32_e32 v41, v27
	v_mov_b32_e32 v60, v54
	;; [unrolled: 1-line block ×3, first 2 shown]
	v_pk_add_f32 v[14:15], v[58:59], v[14:15]
	v_pk_add_f32 v[20:21], v[6:7], v[40:41]
	v_mov_b32_e32 v43, v49
	v_pk_fma_f32 v[22:23], v[34:35], s[20:21], v[0:1] op_sel_hi:[1,0,1] neg_lo:[0,0,1] neg_hi:[0,0,1]
	v_pk_fma_f32 v[0:1], v[34:35], s[20:21], v[0:1] op_sel_hi:[1,0,1]
	v_pk_add_f32 v[14:15], v[60:61], v[14:15]
	v_pk_add_f32 v[20:21], v[42:43], v[20:21]
	v_mov_b32_e32 v45, v51
	v_mov_b32_e32 v27, v1
	v_mov_b32_e32 v1, v23
	v_pk_add_f32 v[20:21], v[44:45], v[20:21]
	v_mov_b32_e32 v47, v55
	v_pk_add_f32 v[0:1], v[0:1], v[14:15]
	v_pk_mul_f32 v[14:15], v[4:5], s[28:29] op_sel:[1,0] op_sel_hi:[0,0]
	v_pk_add_f32 v[20:21], v[46:47], v[20:21]
	v_mov_b32_e32 v26, v22
	v_pk_fma_f32 v[22:23], v[2:3], s[10:11], v[14:15] op_sel_hi:[1,0,1]
	v_pk_fma_f32 v[14:15], v[2:3], s[10:11], v[14:15] op_sel_hi:[1,0,1] neg_lo:[0,0,1] neg_hi:[0,0,1]
	v_pk_mul_f32 v[30:31], v[10:11], s[16:17] op_sel:[1,0] op_sel_hi:[0,0]
	v_pk_add_f32 v[20:21], v[26:27], v[20:21]
	v_mov_b32_e32 v26, v22
	v_mov_b32_e32 v27, v15
	v_pk_fma_f32 v[38:39], v[8:9], s[14:15], v[30:31] op_sel_hi:[1,0,1]
	v_pk_fma_f32 v[30:31], v[8:9], s[14:15], v[30:31] op_sel_hi:[1,0,1] neg_lo:[0,0,1] neg_hi:[0,0,1]
	v_pk_add_f32 v[26:27], v[6:7], v[26:27]
	v_mov_b32_e32 v40, v38
	v_mov_b32_e32 v41, v31
	v_pk_add_f32 v[26:27], v[40:41], v[26:27]
	v_pk_mul_f32 v[40:41], v[18:19], s[34:35] op_sel:[1,0] op_sel_hi:[0,0]
	v_pk_fma_f32 v[42:43], v[16:17], s[20:21], v[40:41] op_sel_hi:[1,0,1]
	v_pk_fma_f32 v[40:41], v[16:17], s[20:21], v[40:41] op_sel_hi:[1,0,1] neg_lo:[0,0,1] neg_hi:[0,0,1]
	v_mov_b32_e32 v44, v42
	v_mov_b32_e32 v45, v41
	v_pk_add_f32 v[26:27], v[44:45], v[26:27]
	v_pk_mul_f32 v[44:45], v[28:29], s[30:31] op_sel:[1,0] op_sel_hi:[0,0]
	v_pk_fma_f32 v[46:47], v[24:25], s[2:3], v[44:45] op_sel_hi:[1,0,1]
	v_pk_fma_f32 v[44:45], v[24:25], s[2:3], v[44:45] op_sel_hi:[1,0,1] neg_lo:[0,0,1] neg_hi:[0,0,1]
	v_mov_b32_e32 v48, v46
	v_mov_b32_e32 v49, v45
	;; [unrolled: 1-line block ×3, first 2 shown]
	v_pk_add_f32 v[26:27], v[48:49], v[26:27]
	v_pk_mul_f32 v[48:49], v[36:37], s[24:25] op_sel:[1,0] op_sel_hi:[0,0]
	v_pk_add_f32 v[14:15], v[6:7], v[14:15]
	v_mov_b32_e32 v31, v39
	v_pk_add_f32 v[14:15], v[30:31], v[14:15]
	v_pk_fma_f32 v[22:23], v[34:35], s[6:7], v[48:49] op_sel_hi:[1,0,1] neg_lo:[0,0,1] neg_hi:[0,0,1]
	v_pk_fma_f32 v[30:31], v[34:35], s[6:7], v[48:49] op_sel_hi:[1,0,1]
	v_mov_b32_e32 v41, v43
	v_mov_b32_e32 v39, v31
	;; [unrolled: 1-line block ×3, first 2 shown]
	v_pk_add_f32 v[14:15], v[40:41], v[14:15]
	v_mov_b32_e32 v45, v47
	v_mov_b32_e32 v38, v22
	v_pk_add_f32 v[22:23], v[30:31], v[26:27]
	v_pk_mul_f32 v[26:27], v[4:5], s[12:13] op_sel:[1,0] op_sel_hi:[0,0]
	v_pk_add_f32 v[14:15], v[44:45], v[14:15]
	v_pk_fma_f32 v[30:31], v[2:3], s[2:3], v[26:27] op_sel_hi:[1,0,1]
	v_pk_fma_f32 v[26:27], v[2:3], s[2:3], v[26:27] op_sel_hi:[1,0,1] neg_lo:[0,0,1] neg_hi:[0,0,1]
	v_pk_mul_f32 v[40:41], v[10:11], s[34:35] op_sel:[1,0] op_sel_hi:[0,0]
	v_pk_add_f32 v[14:15], v[38:39], v[14:15]
	v_mov_b32_e32 v38, v30
	v_mov_b32_e32 v39, v27
	v_pk_fma_f32 v[42:43], v[8:9], s[20:21], v[40:41] op_sel_hi:[1,0,1]
	v_pk_fma_f32 v[40:41], v[8:9], s[20:21], v[40:41] op_sel_hi:[1,0,1] neg_lo:[0,0,1] neg_hi:[0,0,1]
	v_pk_add_f32 v[38:39], v[6:7], v[38:39]
	v_mov_b32_e32 v44, v42
	v_mov_b32_e32 v45, v41
	v_pk_add_f32 v[38:39], v[44:45], v[38:39]
	v_pk_mul_f32 v[44:45], v[18:19], s[26:27] op_sel:[1,0] op_sel_hi:[0,0]
	v_pk_fma_f32 v[46:47], v[16:17], s[10:11], v[44:45] op_sel_hi:[1,0,1]
	v_pk_fma_f32 v[44:45], v[16:17], s[10:11], v[44:45] op_sel_hi:[1,0,1] neg_lo:[0,0,1] neg_hi:[0,0,1]
	v_mov_b32_e32 v48, v46
	v_mov_b32_e32 v49, v45
	v_pk_add_f32 v[38:39], v[48:49], v[38:39]
	v_pk_mul_f32 v[48:49], v[28:29], s[18:19] op_sel:[1,0] op_sel_hi:[0,0]
	v_pk_fma_f32 v[50:51], v[24:25], s[6:7], v[48:49] op_sel_hi:[1,0,1]
	v_pk_fma_f32 v[48:49], v[24:25], s[6:7], v[48:49] op_sel_hi:[1,0,1] neg_lo:[0,0,1] neg_hi:[0,0,1]
	v_mov_b32_e32 v52, v50
	v_mov_b32_e32 v53, v49
	;; [unrolled: 1-line block ×3, first 2 shown]
	v_pk_add_f32 v[38:39], v[52:53], v[38:39]
	v_pk_mul_f32 v[52:53], v[36:37], s[16:17] op_sel:[1,0] op_sel_hi:[0,0]
	v_pk_add_f32 v[26:27], v[6:7], v[26:27]
	v_mov_b32_e32 v41, v43
	v_pk_add_f32 v[26:27], v[40:41], v[26:27]
	v_pk_fma_f32 v[30:31], v[34:35], s[14:15], v[52:53] op_sel_hi:[1,0,1] neg_lo:[0,0,1] neg_hi:[0,0,1]
	v_pk_fma_f32 v[40:41], v[34:35], s[14:15], v[52:53] op_sel_hi:[1,0,1]
	v_mov_b32_e32 v45, v47
	v_mov_b32_e32 v43, v41
	;; [unrolled: 1-line block ×3, first 2 shown]
	v_pk_add_f32 v[26:27], v[44:45], v[26:27]
	v_mov_b32_e32 v49, v51
	v_mov_b32_e32 v42, v30
	v_pk_add_f32 v[30:31], v[40:41], v[38:39]
	v_pk_mul_f32 v[38:39], v[4:5], s[16:17] op_sel:[1,0] op_sel_hi:[0,0]
	v_pk_add_f32 v[26:27], v[48:49], v[26:27]
	v_pk_fma_f32 v[40:41], v[2:3], s[14:15], v[38:39] op_sel_hi:[1,0,1]
	v_pk_fma_f32 v[38:39], v[2:3], s[14:15], v[38:39] op_sel_hi:[1,0,1] neg_lo:[0,0,1] neg_hi:[0,0,1]
	v_pk_mul_f32 v[44:45], v[10:11], s[30:31] op_sel:[1,0] op_sel_hi:[0,0]
	v_pk_add_f32 v[26:27], v[42:43], v[26:27]
	v_mov_b32_e32 v42, v40
	v_mov_b32_e32 v43, v39
	v_pk_fma_f32 v[46:47], v[8:9], s[2:3], v[44:45] op_sel_hi:[1,0,1]
	v_pk_fma_f32 v[44:45], v[8:9], s[2:3], v[44:45] op_sel_hi:[1,0,1] neg_lo:[0,0,1] neg_hi:[0,0,1]
	v_pk_add_f32 v[42:43], v[6:7], v[42:43]
	v_mov_b32_e32 v48, v46
	v_mov_b32_e32 v49, v45
	v_pk_add_f32 v[42:43], v[48:49], v[42:43]
	v_pk_mul_f32 v[48:49], v[18:19], s[18:19] op_sel:[1,0] op_sel_hi:[0,0]
	v_pk_fma_f32 v[50:51], v[16:17], s[6:7], v[48:49] op_sel_hi:[1,0,1]
	v_pk_fma_f32 v[48:49], v[16:17], s[6:7], v[48:49] op_sel_hi:[1,0,1] neg_lo:[0,0,1] neg_hi:[0,0,1]
	v_mov_b32_e32 v52, v50
	v_mov_b32_e32 v53, v49
	v_pk_add_f32 v[42:43], v[52:53], v[42:43]
	v_pk_mul_f32 v[52:53], v[28:29], s[22:23] op_sel:[1,0] op_sel_hi:[0,0]
	v_pk_fma_f32 v[54:55], v[24:25], s[20:21], v[52:53] op_sel_hi:[1,0,1]
	v_pk_fma_f32 v[52:53], v[24:25], s[20:21], v[52:53] op_sel_hi:[1,0,1] neg_lo:[0,0,1] neg_hi:[0,0,1]
	v_mov_b32_e32 v56, v54
	v_mov_b32_e32 v57, v53
	;; [unrolled: 1-line block ×3, first 2 shown]
	v_pk_add_f32 v[42:43], v[56:57], v[42:43]
	v_pk_mul_f32 v[56:57], v[36:37], s[26:27] op_sel:[1,0] op_sel_hi:[0,0]
	v_pk_add_f32 v[38:39], v[6:7], v[38:39]
	v_mov_b32_e32 v45, v47
	v_pk_add_f32 v[38:39], v[44:45], v[38:39]
	v_pk_fma_f32 v[40:41], v[34:35], s[10:11], v[56:57] op_sel_hi:[1,0,1] neg_lo:[0,0,1] neg_hi:[0,0,1]
	v_pk_fma_f32 v[44:45], v[34:35], s[10:11], v[56:57] op_sel_hi:[1,0,1]
	v_pk_mul_f32 v[4:5], v[4:5], s[22:23] op_sel:[1,0] op_sel_hi:[0,0]
	v_mov_b32_e32 v47, v45
	v_mov_b32_e32 v45, v41
	;; [unrolled: 1-line block ×3, first 2 shown]
	v_pk_add_f32 v[40:41], v[44:45], v[42:43]
	v_pk_fma_f32 v[42:43], v[2:3], s[20:21], v[4:5] op_sel_hi:[1,0,1]
	v_pk_fma_f32 v[2:3], v[2:3], s[20:21], v[4:5] op_sel_hi:[1,0,1] neg_lo:[0,0,1] neg_hi:[0,0,1]
	v_pk_mul_f32 v[10:11], v[10:11], s[24:25] op_sel:[1,0] op_sel_hi:[0,0]
	v_mov_b32_e32 v4, v42
	v_mov_b32_e32 v5, v3
	v_pk_fma_f32 v[44:45], v[8:9], s[6:7], v[10:11] op_sel_hi:[1,0,1]
	v_pk_fma_f32 v[8:9], v[8:9], s[6:7], v[10:11] op_sel_hi:[1,0,1] neg_lo:[0,0,1] neg_hi:[0,0,1]
	v_pk_add_f32 v[4:5], v[6:7], v[4:5]
	v_mov_b32_e32 v10, v44
	v_mov_b32_e32 v11, v9
	v_pk_add_f32 v[4:5], v[10:11], v[4:5]
	v_pk_mul_f32 v[10:11], v[18:19], s[16:17] op_sel:[1,0] op_sel_hi:[0,0]
	v_pk_fma_f32 v[18:19], v[16:17], s[14:15], v[10:11] op_sel_hi:[1,0,1]
	v_pk_fma_f32 v[10:11], v[16:17], s[14:15], v[10:11] op_sel_hi:[1,0,1] neg_lo:[0,0,1] neg_hi:[0,0,1]
	v_mov_b32_e32 v16, v18
	v_mov_b32_e32 v17, v11
	v_pk_add_f32 v[4:5], v[16:17], v[4:5]
	v_pk_mul_f32 v[16:17], v[28:29], s[26:27] op_sel:[1,0] op_sel_hi:[0,0]
	v_pk_fma_f32 v[28:29], v[24:25], s[10:11], v[16:17] op_sel_hi:[1,0,1]
	v_pk_fma_f32 v[16:17], v[24:25], s[10:11], v[16:17] op_sel_hi:[1,0,1] neg_lo:[0,0,1] neg_hi:[0,0,1]
	v_mov_b32_e32 v24, v28
	v_mov_b32_e32 v25, v17
	v_mov_b32_e32 v3, v43
	v_pk_add_f32 v[4:5], v[24:25], v[4:5]
	v_pk_mul_f32 v[24:25], v[36:37], s[12:13] op_sel:[1,0] op_sel_hi:[0,0]
	v_pk_add_f32 v[2:3], v[6:7], v[2:3]
	v_mov_b32_e32 v9, v45
	v_pk_add_f32 v[2:3], v[8:9], v[2:3]
	v_mov_b32_e32 v11, v19
	v_pk_fma_f32 v[6:7], v[34:35], s[2:3], v[24:25] op_sel_hi:[1,0,1] neg_lo:[0,0,1] neg_hi:[0,0,1]
	v_pk_fma_f32 v[8:9], v[34:35], s[2:3], v[24:25] op_sel_hi:[1,0,1]
	v_pk_add_f32 v[2:3], v[10:11], v[2:3]
	v_mov_b32_e32 v11, v9
	v_mov_b32_e32 v9, v7
	v_pk_add_f32 v[4:5], v[8:9], v[4:5]
	v_add_u32_e32 v9, 44, v70
	v_mov_b32_e32 v10, v6
	v_mad_u64_u32 v[6:7], s[0:1], s8, v9, 0
	v_mov_b32_e32 v8, v7
	v_mad_u64_u32 v[8:9], s[0:1], s9, v9, v[8:9]
	v_mov_b32_e32 v7, v8
	v_lshl_add_u64 v[6:7], v[6:7], 3, v[32:33]
	v_or_b32_e32 v9, 0x80, v70
	global_store_dwordx2 v[6:7], v[12:13], off
	v_mad_u64_u32 v[6:7], s[0:1], s8, v9, 0
	v_mov_b32_e32 v8, v7
	v_mad_u64_u32 v[8:9], s[0:1], s9, v9, v[8:9]
	v_mov_b32_e32 v7, v8
	v_lshl_add_u64 v[6:7], v[6:7], 3, v[32:33]
	v_add_u32_e32 v9, 0xd4, v70
	global_store_dwordx2 v[6:7], v[20:21], off
	v_mad_u64_u32 v[6:7], s[0:1], s8, v9, 0
	v_mov_b32_e32 v8, v7
	v_mad_u64_u32 v[8:9], s[0:1], s9, v9, v[8:9]
	v_mov_b32_e32 v7, v8
	v_lshl_add_u64 v[6:7], v[6:7], 3, v[32:33]
	v_add_u32_e32 v9, 0x128, v70
	;; [unrolled: 7-line block ×3, first 2 shown]
	global_store_dwordx2 v[6:7], v[26:27], off
	v_mad_u64_u32 v[6:7], s[0:1], s8, v9, 0
	v_mov_b32_e32 v49, v51
	v_mov_b32_e32 v8, v7
	v_pk_add_f32 v[38:39], v[48:49], v[38:39]
	v_mov_b32_e32 v53, v55
	v_mad_u64_u32 v[8:9], s[0:1], s9, v9, v[8:9]
	v_pk_add_f32 v[38:39], v[52:53], v[38:39]
	v_mov_b32_e32 v7, v8
	v_pk_add_f32 v[38:39], v[46:47], v[38:39]
	v_lshl_add_u64 v[6:7], v[6:7], 3, v[32:33]
	v_add_u32_e32 v9, 0x1d0, v70
	global_store_dwordx2 v[6:7], v[38:39], off
	v_mad_u64_u32 v[6:7], s[0:1], s8, v9, 0
	v_mov_b32_e32 v8, v7
	v_mov_b32_e32 v17, v29
	v_mad_u64_u32 v[8:9], s[0:1], s9, v9, v[8:9]
	v_pk_add_f32 v[2:3], v[16:17], v[2:3]
	v_mov_b32_e32 v7, v8
	v_pk_add_f32 v[2:3], v[10:11], v[2:3]
	v_lshl_add_u64 v[6:7], v[6:7], 3, v[32:33]
	global_store_dwordx2 v[6:7], v[2:3], off
	v_add_u32_e32 v7, 0x224, v70
	v_mad_u64_u32 v[2:3], s[0:1], s8, v7, 0
	v_mov_b32_e32 v6, v3
	v_mad_u64_u32 v[6:7], s[0:1], s9, v7, v[6:7]
	v_mov_b32_e32 v3, v6
	v_lshl_add_u64 v[2:3], v[2:3], 3, v[32:33]
	global_store_dwordx2 v[2:3], v[4:5], off
	v_add_u32_e32 v5, 0x278, v70
	v_mad_u64_u32 v[2:3], s[0:1], s8, v5, 0
	v_mov_b32_e32 v4, v3
	v_mad_u64_u32 v[4:5], s[0:1], s9, v5, v[4:5]
	v_mov_b32_e32 v3, v4
	v_lshl_add_u64 v[2:3], v[2:3], 3, v[32:33]
	v_add_u32_e32 v5, 0x2cc, v70
	global_store_dwordx2 v[2:3], v[40:41], off
	v_mad_u64_u32 v[2:3], s[0:1], s8, v5, 0
	v_mov_b32_e32 v4, v3
	v_mad_u64_u32 v[4:5], s[0:1], s9, v5, v[4:5]
	v_mov_b32_e32 v3, v4
	v_lshl_add_u64 v[2:3], v[2:3], 3, v[32:33]
	v_add_u32_e32 v5, 0x320, v70
	global_store_dwordx2 v[2:3], v[30:31], off
	;; [unrolled: 7-line block ×3, first 2 shown]
	v_mad_u64_u32 v[2:3], s[0:1], s8, v5, 0
	v_mov_b32_e32 v4, v3
	v_mad_u64_u32 v[4:5], s[0:1], s9, v5, v[4:5]
	v_mov_b32_e32 v3, v4
	v_lshl_add_u64 v[2:3], v[2:3], 3, v[32:33]
	global_store_dwordx2 v[2:3], v[0:1], off
	s_endpgm
	.section	.rodata,"a",@progbits
	.p2align	6, 0x0
	.amdhsa_kernel fft_rtc_fwd_len924_factors_2_2_3_7_11_wgs_44_tpt_44_halfLds_sp_ip_CI_sbrr_dirReg
		.amdhsa_group_segment_fixed_size 0
		.amdhsa_private_segment_fixed_size 0
		.amdhsa_kernarg_size 88
		.amdhsa_user_sgpr_count 2
		.amdhsa_user_sgpr_dispatch_ptr 0
		.amdhsa_user_sgpr_queue_ptr 0
		.amdhsa_user_sgpr_kernarg_segment_ptr 1
		.amdhsa_user_sgpr_dispatch_id 0
		.amdhsa_user_sgpr_kernarg_preload_length 0
		.amdhsa_user_sgpr_kernarg_preload_offset 0
		.amdhsa_user_sgpr_private_segment_size 0
		.amdhsa_uses_dynamic_stack 0
		.amdhsa_enable_private_segment 0
		.amdhsa_system_sgpr_workgroup_id_x 1
		.amdhsa_system_sgpr_workgroup_id_y 0
		.amdhsa_system_sgpr_workgroup_id_z 0
		.amdhsa_system_sgpr_workgroup_info 0
		.amdhsa_system_vgpr_workitem_id 0
		.amdhsa_next_free_vgpr 118
		.amdhsa_next_free_sgpr 36
		.amdhsa_accum_offset 120
		.amdhsa_reserve_vcc 1
		.amdhsa_float_round_mode_32 0
		.amdhsa_float_round_mode_16_64 0
		.amdhsa_float_denorm_mode_32 3
		.amdhsa_float_denorm_mode_16_64 3
		.amdhsa_dx10_clamp 1
		.amdhsa_ieee_mode 1
		.amdhsa_fp16_overflow 0
		.amdhsa_tg_split 0
		.amdhsa_exception_fp_ieee_invalid_op 0
		.amdhsa_exception_fp_denorm_src 0
		.amdhsa_exception_fp_ieee_div_zero 0
		.amdhsa_exception_fp_ieee_overflow 0
		.amdhsa_exception_fp_ieee_underflow 0
		.amdhsa_exception_fp_ieee_inexact 0
		.amdhsa_exception_int_div_zero 0
	.end_amdhsa_kernel
	.text
.Lfunc_end0:
	.size	fft_rtc_fwd_len924_factors_2_2_3_7_11_wgs_44_tpt_44_halfLds_sp_ip_CI_sbrr_dirReg, .Lfunc_end0-fft_rtc_fwd_len924_factors_2_2_3_7_11_wgs_44_tpt_44_halfLds_sp_ip_CI_sbrr_dirReg
                                        ; -- End function
	.section	.AMDGPU.csdata,"",@progbits
; Kernel info:
; codeLenInByte = 14452
; NumSgprs: 42
; NumVgprs: 118
; NumAgprs: 0
; TotalNumVgprs: 118
; ScratchSize: 0
; MemoryBound: 0
; FloatMode: 240
; IeeeMode: 1
; LDSByteSize: 0 bytes/workgroup (compile time only)
; SGPRBlocks: 5
; VGPRBlocks: 14
; NumSGPRsForWavesPerEU: 42
; NumVGPRsForWavesPerEU: 118
; AccumOffset: 120
; Occupancy: 4
; WaveLimiterHint : 1
; COMPUTE_PGM_RSRC2:SCRATCH_EN: 0
; COMPUTE_PGM_RSRC2:USER_SGPR: 2
; COMPUTE_PGM_RSRC2:TRAP_HANDLER: 0
; COMPUTE_PGM_RSRC2:TGID_X_EN: 1
; COMPUTE_PGM_RSRC2:TGID_Y_EN: 0
; COMPUTE_PGM_RSRC2:TGID_Z_EN: 0
; COMPUTE_PGM_RSRC2:TIDIG_COMP_CNT: 0
; COMPUTE_PGM_RSRC3_GFX90A:ACCUM_OFFSET: 29
; COMPUTE_PGM_RSRC3_GFX90A:TG_SPLIT: 0
	.text
	.p2alignl 6, 3212836864
	.fill 256, 4, 3212836864
	.type	__hip_cuid_3722fcfd30cf7060,@object ; @__hip_cuid_3722fcfd30cf7060
	.section	.bss,"aw",@nobits
	.globl	__hip_cuid_3722fcfd30cf7060
__hip_cuid_3722fcfd30cf7060:
	.byte	0                               ; 0x0
	.size	__hip_cuid_3722fcfd30cf7060, 1

	.ident	"AMD clang version 19.0.0git (https://github.com/RadeonOpenCompute/llvm-project roc-6.4.0 25133 c7fe45cf4b819c5991fe208aaa96edf142730f1d)"
	.section	".note.GNU-stack","",@progbits
	.addrsig
	.addrsig_sym __hip_cuid_3722fcfd30cf7060
	.amdgpu_metadata
---
amdhsa.kernels:
  - .agpr_count:     0
    .args:
      - .actual_access:  read_only
        .address_space:  global
        .offset:         0
        .size:           8
        .value_kind:     global_buffer
      - .offset:         8
        .size:           8
        .value_kind:     by_value
      - .actual_access:  read_only
        .address_space:  global
        .offset:         16
        .size:           8
        .value_kind:     global_buffer
      - .actual_access:  read_only
        .address_space:  global
        .offset:         24
        .size:           8
        .value_kind:     global_buffer
      - .offset:         32
        .size:           8
        .value_kind:     by_value
      - .actual_access:  read_only
        .address_space:  global
        .offset:         40
        .size:           8
        .value_kind:     global_buffer
      - .actual_access:  read_only
        .address_space:  global
        .offset:         48
        .size:           8
        .value_kind:     global_buffer
      - .offset:         56
        .size:           4
        .value_kind:     by_value
      - .actual_access:  read_only
        .address_space:  global
        .offset:         64
        .size:           8
        .value_kind:     global_buffer
      - .actual_access:  read_only
        .address_space:  global
        .offset:         72
        .size:           8
        .value_kind:     global_buffer
      - .address_space:  global
        .offset:         80
        .size:           8
        .value_kind:     global_buffer
    .group_segment_fixed_size: 0
    .kernarg_segment_align: 8
    .kernarg_segment_size: 88
    .language:       OpenCL C
    .language_version:
      - 2
      - 0
    .max_flat_workgroup_size: 44
    .name:           fft_rtc_fwd_len924_factors_2_2_3_7_11_wgs_44_tpt_44_halfLds_sp_ip_CI_sbrr_dirReg
    .private_segment_fixed_size: 0
    .sgpr_count:     42
    .sgpr_spill_count: 0
    .symbol:         fft_rtc_fwd_len924_factors_2_2_3_7_11_wgs_44_tpt_44_halfLds_sp_ip_CI_sbrr_dirReg.kd
    .uniform_work_group_size: 1
    .uses_dynamic_stack: false
    .vgpr_count:     118
    .vgpr_spill_count: 0
    .wavefront_size: 64
amdhsa.target:   amdgcn-amd-amdhsa--gfx950
amdhsa.version:
  - 1
  - 2
...

	.end_amdgpu_metadata
